;; amdgpu-corpus repo=ROCm/rocSPARSE kind=compiled arch=gfx950 opt=O3
	.amdgcn_target "amdgcn-amd-amdhsa--gfx950"
	.amdhsa_code_object_version 6
	.section	.text._ZN9rocsparseL15bsrilu0_generalILj128ELj64ELb1EfEEv20rocsparse_direction_iPKiS3_PT2_S3_iPiS3_S6_21rocsparse_index_base_imNS_24const_host_device_scalarIfEENS8_IdEENS8_IS4_EEb,"axG",@progbits,_ZN9rocsparseL15bsrilu0_generalILj128ELj64ELb1EfEEv20rocsparse_direction_iPKiS3_PT2_S3_iPiS3_S6_21rocsparse_index_base_imNS_24const_host_device_scalarIfEENS8_IdEENS8_IS4_EEb,comdat
	.globl	_ZN9rocsparseL15bsrilu0_generalILj128ELj64ELb1EfEEv20rocsparse_direction_iPKiS3_PT2_S3_iPiS3_S6_21rocsparse_index_base_imNS_24const_host_device_scalarIfEENS8_IdEENS8_IS4_EEb ; -- Begin function _ZN9rocsparseL15bsrilu0_generalILj128ELj64ELb1EfEEv20rocsparse_direction_iPKiS3_PT2_S3_iPiS3_S6_21rocsparse_index_base_imNS_24const_host_device_scalarIfEENS8_IdEENS8_IS4_EEb
	.p2align	8
	.type	_ZN9rocsparseL15bsrilu0_generalILj128ELj64ELb1EfEEv20rocsparse_direction_iPKiS3_PT2_S3_iPiS3_S6_21rocsparse_index_base_imNS_24const_host_device_scalarIfEENS8_IdEENS8_IS4_EEb,@function
_ZN9rocsparseL15bsrilu0_generalILj128ELj64ELb1EfEEv20rocsparse_direction_iPKiS3_PT2_S3_iPiS3_S6_21rocsparse_index_base_imNS_24const_host_device_scalarIfEENS8_IdEENS8_IS4_EEb: ; @_ZN9rocsparseL15bsrilu0_generalILj128ELj64ELb1EfEEv20rocsparse_direction_iPKiS3_PT2_S3_iPiS3_S6_21rocsparse_index_base_imNS_24const_host_device_scalarIfEENS8_IdEENS8_IS4_EEb
; %bb.0:
	s_load_dword s3, s[0:1], 0x70
	s_load_dwordx2 s[14:15], s[0:1], 0x48
	s_load_dwordx8 s[24:31], s[0:1], 0x50
	s_waitcnt lgkmcnt(0)
	s_bitcmp1_b32 s3, 0
	s_cselect_b64 s[4:5], -1, 0
	s_cmp_eq_u32 s15, 0
	s_cselect_b64 s[6:7], -1, 0
	s_cmp_lg_u32 s15, 0
	s_cselect_b64 s[36:37], -1, 0
	s_or_b64 s[4:5], s[6:7], s[4:5]
	s_xor_b64 s[8:9], s[4:5], -1
	s_and_b64 s[10:11], s[6:7], exec
	s_cselect_b32 s11, 0, s29
	s_cselect_b32 s10, 0, s28
	s_and_b64 vcc, exec, s[4:5]
	s_cbranch_vccnz .LBB0_2
; %bb.1:
	s_load_dword s3, s[26:27], 0x0
	s_mov_b64 s[10:11], s[28:29]
	s_waitcnt lgkmcnt(0)
	v_mov_b32_e32 v25, s3
	s_branch .LBB0_3
.LBB0_2:
	v_mov_b32_e32 v1, s26
	v_cndmask_b32_e64 v25, v1, 0, s[6:7]
.LBB0_3:
	v_cndmask_b32_e64 v1, 0, 1, s[8:9]
	v_cmp_ne_u32_e64 s[4:5], 1, v1
	s_andn2_b64 vcc, exec, s[8:9]
	v_mov_b64_e32 v[6:7], s[10:11]
	s_cbranch_vccnz .LBB0_5
; %bb.4:
	v_mov_b64_e32 v[2:3], s[28:29]
	flat_load_dwordx2 v[6:7], v[2:3]
.LBB0_5:
	s_and_b64 vcc, exec, s[4:5]
	s_cbranch_vccnz .LBB0_7
; %bb.6:
	s_load_dword s3, s[30:31], 0x0
	s_waitcnt lgkmcnt(0)
	v_mov_b32_e32 v24, s3
	s_branch .LBB0_8
.LBB0_7:
	v_mov_b32_e32 v1, s30
	v_cndmask_b32_e64 v24, v1, 0, s[6:7]
.LBB0_8:
	s_load_dwordx2 s[34:35], s[0:1], 0x0
	s_lshl_b32 s2, s2, 1
	v_lshrrev_b32_e32 v1, 6, v0
	s_and_b32 s2, s2, 0x3fffffe
	v_or_b32_e32 v1, s2, v1
	s_waitcnt lgkmcnt(0)
	v_cmp_gt_i32_e32 vcc, s35, v1
	s_and_saveexec_b64 s[2:3], vcc
	s_cbranch_execz .LBB0_143
; %bb.9:
	s_load_dwordx4 s[28:31], s[0:1], 0x30
	s_load_dwordx2 s[26:27], s[0:1], 0x40
	v_lshlrev_b32_e32 v1, 2, v1
	s_load_dwordx8 s[16:23], s[0:1], 0x8
	v_and_b32_e32 v0, 63, v0
	s_waitcnt lgkmcnt(0)
	global_load_dword v2, v1, s[30:31]
	s_mov_b64 s[2:3], -1
	s_waitcnt vmcnt(0)
	v_ashrrev_i32_e32 v3, 31, v2
	v_lshl_add_u64 v[4:5], v[2:3], 2, s[22:23]
	global_load_dword v4, v[4:5], off
	s_waitcnt vmcnt(0)
	v_cmp_ne_u32_e32 vcc, -1, v4
	s_and_saveexec_b64 s[30:31], vcc
	s_cbranch_execz .LBB0_137
; %bb.10:
	v_lshl_add_u64 v[8:9], v[2:3], 2, s[16:17]
	global_load_dwordx2 v[8:9], v[8:9], off
	s_load_dword s15, s[0:1], 0x28
	s_mov_b64 s[8:9], 0
	s_waitcnt vmcnt(0)
	v_subrev_u32_e32 v8, s14, v8
	v_subrev_u32_e32 v1, s14, v9
	v_cmp_lt_i32_e32 vcc, v8, v4
	s_and_saveexec_b64 s[38:39], vcc
	s_cbranch_execz .LBB0_78
; %bb.11:
	s_waitcnt lgkmcnt(0)
	s_cmp_gt_i32 s15, 0
	s_cselect_b64 s[6:7], -1, 0
	v_add_u32_e32 v10, v8, v0
	v_mad_u64_u32 v[14:15], s[8:9], s15, v8, v[0:1]
	v_cndmask_b32_e64 v9, 0, 1, s[6:7]
	s_cmp_lg_u32 s34, 0
	v_ashrrev_i32_e32 v11, 31, v10
	v_mul_lo_u32 v5, s15, v14
	v_cmp_ne_u32_e64 s[6:7], 1, v9
	v_mbcnt_lo_u32_b32 v9, -1, 0
	s_cselect_b64 s[40:41], -1, 0
	v_cmp_gt_i32_e64 s[0:1], s15, v0
	v_cmp_le_i32_e64 s[2:3], s15, v0
	v_cmp_lt_i32_e64 s[4:5], v10, v1
	s_add_i32 s33, s35, 1
	v_lshl_add_u64 v[12:13], v[10:11], 2, s[18:19]
	s_mul_i32 s35, s15, s15
	s_add_i32 s60, s15, 1
	v_add_u32_e32 v11, 1, v5
	s_lshl_b32 s61, s15, 6
	s_add_i32 s62, s15, -1
	s_mov_b64 s[48:49], 0
	s_mov_b64 s[42:43], 0
	v_mbcnt_hi_u32_b32 v26, -1, v9
                                        ; implicit-def: $sgpr44_sgpr45
                                        ; implicit-def: $sgpr46_sgpr47
	s_branch .LBB0_14
.LBB0_12:                               ;   in Loop: Header=BB0_14 Depth=1
	s_or_b64 exec, exec, s[10:11]
	s_andn2_b64 s[10:11], s[46:47], exec
	s_and_b64 s[12:13], s[48:49], exec
	s_or_b64 s[46:47], s[10:11], s[12:13]
.LBB0_13:                               ;   in Loop: Header=BB0_14 Depth=1
	s_or_b64 exec, exec, s[50:51]
	v_add_u32_e32 v8, 1, v8
	v_cmp_ge_i32_e32 vcc, v8, v4
	s_xor_b64 s[8:9], s[8:9], -1
	s_or_b64 s[8:9], s[8:9], vcc
	s_and_b64 s[8:9], exec, s[8:9]
	s_or_b64 s[42:43], s[8:9], s[42:43]
	s_andn2_b64 s[8:9], s[44:45], exec
	s_and_b64 s[10:11], s[46:47], exec
	v_add_u32_e32 v11, s35, v11
	v_add_u32_e32 v5, s35, v5
	s_or_b64 s[44:45], s[8:9], s[10:11]
	s_mov_b64 s[48:49], s[46:47]
	s_andn2_b64 exec, exec, s[42:43]
	s_cbranch_execz .LBB0_77
.LBB0_14:                               ; =>This Loop Header: Depth=1
                                        ;     Child Loop BB0_18 Depth 2
                                        ;       Child Loop BB0_19 Depth 3
                                        ;     Child Loop BB0_24 Depth 2
                                        ;       Child Loop BB0_29 Depth 3
                                        ;         Child Loop BB0_38 Depth 4
                                        ;     Child Loop BB0_51 Depth 2
                                        ;       Child Loop BB0_56 Depth 3
                                        ;       Child Loop BB0_63 Depth 3
                                        ;         Child Loop BB0_65 Depth 4
                                        ;           Child Loop BB0_67 Depth 5
	v_ashrrev_i32_e32 v9, 31, v8
	v_lshl_add_u64 v[14:15], v[8:9], 2, s[18:19]
	global_load_dword v9, v[14:15], off
	s_or_b64 s[46:47], s[46:47], exec
	s_waitcnt vmcnt(0)
	v_subrev_u32_e32 v14, s14, v9
	v_ashrrev_i32_e32 v15, 31, v14
	s_waitcnt lgkmcnt(0)
	v_lshl_add_u64 v[16:17], v[14:15], 2, s[22:23]
	global_load_dword v17, v[16:17], off
	s_waitcnt vmcnt(0)
	v_cmp_ne_u32_e64 s[8:9], -1, v17
	s_and_saveexec_b64 s[50:51], s[8:9]
	s_cbranch_execz .LBB0_13
; %bb.15:                               ;   in Loop: Header=BB0_14 Depth=1
	v_lshlrev_b64 v[14:15], 2, v[14:15]
	v_lshl_add_u64 v[18:19], s[16:17], 0, v[14:15]
	v_lshl_add_u64 v[14:15], s[28:29], 0, v[14:15]
	global_load_dword v19, v[18:19], off offset:4
	s_nop 0
	global_load_dword v9, v[14:15], off sc1
	s_waitcnt vmcnt(0)
	v_cmp_eq_u32_e32 vcc, 0, v9
	s_and_saveexec_b64 s[10:11], vcc
	s_cbranch_execz .LBB0_20
; %bb.16:                               ;   in Loop: Header=BB0_14 Depth=1
	s_mov_b32 s52, 0
	s_mov_b64 s[12:13], 0
	s_branch .LBB0_18
.LBB0_17:                               ;   in Loop: Header=BB0_18 Depth=2
	global_load_dword v9, v[14:15], off sc1
	s_cmpk_lt_u32 s52, 0xf43
	s_cselect_b64 s[54:55], -1, 0
	s_cmp_lg_u64 s[54:55], 0
	s_addc_u32 s52, s52, 0
	s_waitcnt vmcnt(0)
	v_cmp_ne_u32_e32 vcc, 0, v9
	s_or_b64 s[12:13], vcc, s[12:13]
	s_andn2_b64 exec, exec, s[12:13]
	s_cbranch_execz .LBB0_20
.LBB0_18:                               ;   Parent Loop BB0_14 Depth=1
                                        ; =>  This Loop Header: Depth=2
                                        ;       Child Loop BB0_19 Depth 3
	s_cmp_eq_u32 s52, 0
	s_mov_b32 s53, s52
	s_cbranch_scc1 .LBB0_17
.LBB0_19:                               ;   Parent Loop BB0_14 Depth=1
                                        ;     Parent Loop BB0_18 Depth=2
                                        ; =>    This Inner Loop Header: Depth=3
	s_add_i32 s53, s53, -1
	s_cmp_eq_u32 s53, 0
	s_sleep 1
	s_cbranch_scc0 .LBB0_19
	s_branch .LBB0_17
.LBB0_20:                               ;   in Loop: Header=BB0_14 Depth=1
	s_or_b64 exec, exec, s[10:11]
	s_and_b64 vcc, exec, s[6:7]
	v_mul_lo_u32 v9, v8, s15
	buffer_inv sc1
	s_cbranch_vccnz .LBB0_47
; %bb.21:                               ;   in Loop: Header=BB0_14 Depth=1
	v_mad_u64_u32 v[14:15], s[10:11], s35, v17, 1
	v_mul_lo_u32 v27, v17, s15
	v_mov_b32_e32 v16, 0
	s_mov_b64 s[52:53], 0
	s_mov_b32 s63, s62
	v_mov_b32_e32 v15, v11
	s_branch .LBB0_24
.LBB0_22:                               ;   in Loop: Header=BB0_24 Depth=2
	s_or_b64 exec, exec, s[56:57]
	v_mov_b32_e32 v16, v28
.LBB0_23:                               ;   in Loop: Header=BB0_24 Depth=2
	s_or_b64 exec, exec, s[54:55]
	s_add_i32 s63, s63, -1
	v_cmp_eq_u32_e32 vcc, s15, v16
	v_add_u32_e32 v14, s60, v14
	s_or_b64 s[52:53], vcc, s[52:53]
	v_add_u32_e32 v15, 1, v15
	s_andn2_b64 exec, exec, s[52:53]
	s_cbranch_execz .LBB0_46
.LBB0_24:                               ;   Parent Loop BB0_14 Depth=1
                                        ; =>  This Loop Header: Depth=2
                                        ;       Child Loop BB0_29 Depth 3
                                        ;         Child Loop BB0_38 Depth 4
	v_add_u32_e32 v28, 1, v16
	s_and_saveexec_b64 s[10:11], s[2:3]
	s_xor_b64 s[10:11], exec, s[10:11]
; %bb.25:                               ;   in Loop: Header=BB0_24 Depth=2
	v_add_u32_e32 v16, 1, v16
                                        ; implicit-def: $vgpr28
; %bb.26:                               ;   in Loop: Header=BB0_24 Depth=2
	s_andn2_saveexec_b64 s[54:55], s[10:11]
	s_cbranch_execz .LBB0_23
; %bb.27:                               ;   in Loop: Header=BB0_24 Depth=2
	v_add_u32_e32 v18, v16, v27
	v_mad_u64_u32 v[20:21], s[10:11], v18, s15, v[16:17]
	v_ashrrev_i32_e32 v21, 31, v20
	v_lshl_add_u64 v[20:21], v[20:21], 2, s[20:21]
	global_load_dword v29, v[20:21], off
	v_add_u32_e32 v18, v16, v9
	v_mul_lo_u32 v30, v18, s15
	v_cmp_gt_i32_e64 s[10:11], s15, v28
	s_mov_b64 s[56:57], 0
	v_mov_b32_e32 v31, v15
	v_mov_b32_e32 v18, v0
	s_branch .LBB0_29
.LBB0_28:                               ;   in Loop: Header=BB0_29 Depth=3
	s_or_b64 exec, exec, s[58:59]
	v_add_u32_e32 v18, 64, v18
	v_cmp_le_i32_e32 vcc, s15, v18
	s_or_b64 s[56:57], vcc, s[56:57]
	v_add_u32_e32 v31, s61, v31
	s_andn2_b64 exec, exec, s[56:57]
	s_cbranch_execz .LBB0_22
.LBB0_29:                               ;   Parent Loop BB0_14 Depth=1
                                        ;     Parent Loop BB0_24 Depth=2
                                        ; =>    This Loop Header: Depth=3
                                        ;         Child Loop BB0_38 Depth 4
	s_and_b64 vcc, exec, s[40:41]
	v_add_u32_e32 v20, v18, v30
	s_cbranch_vccz .LBB0_44
; %bb.30:                               ;   in Loop: Header=BB0_29 Depth=3
	v_add_u32_e32 v22, v18, v30
	v_add_u32_e32 v21, v18, v9
	s_cbranch_execnz .LBB0_32
.LBB0_31:                               ;   in Loop: Header=BB0_29 Depth=3
	v_mad_u64_u32 v[22:23], s[12:13], v21, s15, v[16:17]
.LBB0_32:                               ;   in Loop: Header=BB0_29 Depth=3
	v_ashrrev_i32_e32 v23, 31, v22
	v_lshl_add_u64 v[22:23], v[22:23], 2, s[20:21]
	global_load_dword v22, v[22:23], off
	s_and_b64 vcc, exec, s[40:41]
	s_cbranch_vccz .LBB0_45
; %bb.33:                               ;   in Loop: Header=BB0_29 Depth=3
	s_cbranch_execnz .LBB0_35
.LBB0_34:                               ;   in Loop: Header=BB0_29 Depth=3
	v_mad_u64_u32 v[20:21], s[12:13], v21, s15, v[16:17]
.LBB0_35:                               ;   in Loop: Header=BB0_29 Depth=3
	s_waitcnt vmcnt(0)
	v_div_scale_f32 v21, s[12:13], v29, v29, v22
	v_rcp_f32_e32 v23, v21
	v_div_scale_f32 v32, vcc, v22, v29, v22
	v_fma_f32 v33, -v21, v23, 1.0
	v_fmac_f32_e32 v23, v33, v23
	v_mul_f32_e32 v33, v32, v23
	v_fma_f32 v34, -v21, v33, v32
	v_fmac_f32_e32 v33, v34, v23
	v_fma_f32 v21, -v21, v33, v32
	v_div_fmas_f32 v21, v21, v23, v33
	v_div_fixup_f32 v22, v21, v29, v22
	v_ashrrev_i32_e32 v21, 31, v20
	v_lshl_add_u64 v[20:21], v[20:21], 2, s[20:21]
	global_store_dword v[20:21], v22, off
	s_and_saveexec_b64 s[58:59], s[10:11]
	s_cbranch_execz .LBB0_28
; %bb.36:                               ;   in Loop: Header=BB0_29 Depth=3
	s_mov_b32 s64, s63
	v_mov_b32_e32 v23, v31
	v_mov_b32_e32 v32, v14
	;; [unrolled: 1-line block ×3, first 2 shown]
	s_branch .LBB0_38
.LBB0_37:                               ;   in Loop: Header=BB0_38 Depth=4
	v_ashrrev_i32_e32 v21, 31, v20
	s_add_i32 s64, s64, -1
	s_waitcnt vmcnt(0)
	v_fma_f32 v34, -v22, v34, v36
	v_lshl_add_u64 v[20:21], v[20:21], 2, s[20:21]
	v_add_u32_e32 v33, 1, v33
	v_add_u32_e32 v32, 1, v32
	s_cmp_eq_u32 s64, 0
	v_add_u32_e32 v23, 1, v23
	global_store_dword v[20:21], v34, off
	s_cbranch_scc1 .LBB0_28
.LBB0_38:                               ;   Parent Loop BB0_14 Depth=1
                                        ;     Parent Loop BB0_24 Depth=2
                                        ;       Parent Loop BB0_29 Depth=3
                                        ; =>      This Inner Loop Header: Depth=4
	v_cndmask_b32_e64 v20, 0, 1, s[40:41]
	v_cmp_ne_u32_e64 s[12:13], 1, v20
	s_andn2_b64 vcc, exec, s[40:41]
	v_mov_b32_e32 v20, v32
	s_cbranch_vccnz .LBB0_40
; %bb.39:                               ;   in Loop: Header=BB0_38 Depth=4
	v_add_u32_e32 v20, v33, v27
	v_mad_u64_u32 v[20:21], s[66:67], v20, s15, v[16:17]
.LBB0_40:                               ;   in Loop: Header=BB0_38 Depth=4
	v_ashrrev_i32_e32 v21, 31, v20
	v_lshl_add_u64 v[20:21], v[20:21], 2, s[20:21]
	global_load_dword v34, v[20:21], off
	s_and_b64 vcc, exec, s[12:13]
	v_add_u32_e32 v35, v33, v9
	v_mov_b32_e32 v20, v23
	s_cbranch_vccnz .LBB0_42
; %bb.41:                               ;   in Loop: Header=BB0_38 Depth=4
	v_mad_u64_u32 v[20:21], s[66:67], v35, s15, v[18:19]
.LBB0_42:                               ;   in Loop: Header=BB0_38 Depth=4
	v_ashrrev_i32_e32 v21, 31, v20
	v_lshl_add_u64 v[20:21], v[20:21], 2, s[20:21]
	global_load_dword v36, v[20:21], off
	s_and_b64 vcc, exec, s[12:13]
	v_mov_b32_e32 v20, v23
	s_cbranch_vccnz .LBB0_37
; %bb.43:                               ;   in Loop: Header=BB0_38 Depth=4
	v_mad_u64_u32 v[20:21], s[12:13], v35, s15, v[18:19]
	s_branch .LBB0_37
.LBB0_44:                               ;   in Loop: Header=BB0_29 Depth=3
                                        ; implicit-def: $vgpr22
	v_add_u32_e32 v21, v18, v9
	s_branch .LBB0_31
.LBB0_45:                               ;   in Loop: Header=BB0_29 Depth=3
                                        ; implicit-def: $vgpr20
	s_branch .LBB0_34
.LBB0_46:                               ;   in Loop: Header=BB0_14 Depth=1
	s_or_b64 exec, exec, s[52:53]
.LBB0_47:                               ;   in Loop: Header=BB0_14 Depth=1
	v_subrev_u32_e32 v20, s14, v19
	v_add_u32_e32 v14, 1, v17
	v_cmp_lt_i32_e32 vcc, v14, v20
	s_and_saveexec_b64 s[10:11], vcc
	s_cbranch_execz .LBB0_12
; %bb.48:                               ;   in Loop: Header=BB0_14 Depth=1
	v_mul_lo_u32 v21, s35, v14
	s_mov_b64 s[12:13], 0
	s_branch .LBB0_51
.LBB0_49:                               ;   in Loop: Header=BB0_51 Depth=2
	s_or_b64 exec, exec, s[52:53]
.LBB0_50:                               ;   in Loop: Header=BB0_51 Depth=2
	v_add_u32_e32 v14, 1, v14
	v_cmp_ge_i32_e32 vcc, v14, v20
	s_or_b64 s[12:13], vcc, s[12:13]
	v_add_u32_e32 v21, s35, v21
	s_andn2_b64 exec, exec, s[12:13]
	s_cbranch_execz .LBB0_12
.LBB0_51:                               ;   Parent Loop BB0_14 Depth=1
                                        ; =>  This Loop Header: Depth=2
                                        ;       Child Loop BB0_56 Depth 3
                                        ;       Child Loop BB0_63 Depth 3
                                        ;         Child Loop BB0_65 Depth 4
                                        ;           Child Loop BB0_67 Depth 5
	v_ashrrev_i32_e32 v15, 31, v14
	s_waitcnt lgkmcnt(0)
	v_lshl_add_u64 v[16:17], v[14:15], 2, s[18:19]
	global_load_dword v15, v[16:17], off
	v_mov_b32_e32 v17, s33
	s_and_saveexec_b64 s[52:53], s[4:5]
	s_cbranch_execz .LBB0_53
; %bb.52:                               ;   in Loop: Header=BB0_51 Depth=2
	global_load_dword v16, v[12:13], off
	s_waitcnt vmcnt(0)
	v_subrev_u32_e32 v17, s14, v16
.LBB0_53:                               ;   in Loop: Header=BB0_51 Depth=2
	s_or_b64 exec, exec, s[52:53]
	s_waitcnt vmcnt(0)
	v_subrev_u32_e32 v15, s14, v15
	v_cmp_lt_i32_e32 vcc, v17, v15
	v_mov_b32_e32 v18, v10
	s_and_saveexec_b64 s[52:53], vcc
	s_cbranch_execz .LBB0_59
; %bb.54:                               ;   in Loop: Header=BB0_51 Depth=2
	s_mov_b64 s[54:55], 0
	v_mov_b32_e32 v16, v10
	s_branch .LBB0_56
.LBB0_55:                               ;   in Loop: Header=BB0_56 Depth=3
	s_or_b64 exec, exec, s[56:57]
	v_cmp_ge_i32_e32 vcc, v17, v15
	s_or_b64 s[54:55], vcc, s[54:55]
	v_mov_b32_e32 v16, v18
	s_andn2_b64 exec, exec, s[54:55]
	s_cbranch_execz .LBB0_58
.LBB0_56:                               ;   Parent Loop BB0_14 Depth=1
                                        ;     Parent Loop BB0_51 Depth=2
                                        ; =>    This Inner Loop Header: Depth=3
	v_add_u32_e32 v18, 64, v16
	v_cmp_lt_i32_e32 vcc, v18, v1
	v_mov_b32_e32 v17, s33
	s_and_saveexec_b64 s[56:57], vcc
	s_cbranch_execz .LBB0_55
; %bb.57:                               ;   in Loop: Header=BB0_56 Depth=3
	v_ashrrev_i32_e32 v17, 31, v16
	v_lshl_add_u64 v[16:17], v[16:17], 2, s[18:19]
	global_load_dword v16, v[16:17], off offset:256
	s_waitcnt vmcnt(0)
	v_subrev_u32_e32 v17, s14, v16
	s_branch .LBB0_55
.LBB0_58:                               ;   in Loop: Header=BB0_51 Depth=2
	s_or_b64 exec, exec, s[54:55]
.LBB0_59:                               ;   in Loop: Header=BB0_51 Depth=2
	s_or_b64 exec, exec, s[52:53]
	v_cmp_eq_u32_e32 vcc, v17, v15
	s_cbranch_vccz .LBB0_50
; %bb.60:                               ;   in Loop: Header=BB0_51 Depth=2
	s_ff1_i32_b64 s52, vcc
	v_and_or_b32 v15, v26, 64, s52
	v_lshlrev_b32_e32 v15, 2, v15
	ds_bpermute_b32 v16, v15, v18
	s_and_saveexec_b64 s[52:53], s[0:1]
	s_cbranch_execz .LBB0_49
; %bb.61:                               ;   in Loop: Header=BB0_51 Depth=2
	v_mul_lo_u32 v15, v14, s15
	s_waitcnt lgkmcnt(0)
	v_mul_lo_u32 v17, v16, s15
	s_mov_b64 s[54:55], 0
	v_mov_b32_e32 v22, v5
	v_mov_b32_e32 v16, v0
	s_branch .LBB0_63
.LBB0_62:                               ;   in Loop: Header=BB0_63 Depth=3
	v_add_u32_e32 v16, 64, v16
	v_cmp_le_i32_e32 vcc, s15, v16
	s_or_b64 s[54:55], vcc, s[54:55]
	v_add_u32_e32 v22, s61, v22
	s_andn2_b64 exec, exec, s[54:55]
	s_cbranch_execz .LBB0_49
.LBB0_63:                               ;   Parent Loop BB0_14 Depth=1
                                        ;     Parent Loop BB0_51 Depth=2
                                        ; =>    This Loop Header: Depth=3
                                        ;         Child Loop BB0_65 Depth 4
                                        ;           Child Loop BB0_67 Depth 5
	v_add_u32_e32 v18, v16, v17
	v_mul_lo_u32 v23, v18, s15
	s_mov_b32 s58, 0
	v_mov_b32_e32 v27, v21
	s_branch .LBB0_65
.LBB0_64:                               ;   in Loop: Header=BB0_65 Depth=4
	v_ashrrev_i32_e32 v19, 31, v18
	v_lshl_add_u64 v[18:19], v[18:19], 2, s[20:21]
	global_load_dword v29, v[18:19], off
	s_add_i32 s58, s58, 1
	s_cmp_eq_u32 s58, s15
	v_add_u32_e32 v27, 1, v27
	s_waitcnt vmcnt(0)
	v_sub_f32_e32 v28, v29, v28
	global_store_dword v[18:19], v28, off
	s_cbranch_scc1 .LBB0_62
.LBB0_65:                               ;   Parent Loop BB0_14 Depth=1
                                        ;     Parent Loop BB0_51 Depth=2
                                        ;       Parent Loop BB0_63 Depth=3
                                        ; =>      This Loop Header: Depth=4
                                        ;           Child Loop BB0_67 Depth 5
	v_add_u32_e32 v18, s58, v15
	v_mul_lo_u32 v29, v18, s15
	v_mov_b32_e32 v28, 0
	v_mov_b32_e32 v30, v27
	s_mov_b32 s59, 0
	s_branch .LBB0_67
.LBB0_66:                               ;   in Loop: Header=BB0_67 Depth=5
	v_ashrrev_i32_e32 v19, 31, v18
	v_lshl_add_u64 v[18:19], v[18:19], 2, s[20:21]
	global_load_dword v18, v[18:19], off
	s_add_i32 s59, s59, 1
	s_cmp_eq_u32 s15, s59
	v_add_u32_e32 v30, s15, v30
	s_waitcnt vmcnt(0)
	v_fmac_f32_e32 v28, v31, v18
	s_cbranch_scc1 .LBB0_73
.LBB0_67:                               ;   Parent Loop BB0_14 Depth=1
                                        ;     Parent Loop BB0_51 Depth=2
                                        ;       Parent Loop BB0_63 Depth=3
                                        ;         Parent Loop BB0_65 Depth=4
                                        ; =>        This Inner Loop Header: Depth=5
	s_and_b64 vcc, exec, s[40:41]
	s_cbranch_vccz .LBB0_72
; %bb.68:                               ;   in Loop: Header=BB0_67 Depth=5
	v_add_u32_e32 v18, s59, v9
	v_mad_u64_u32 v[18:19], s[56:57], v18, s15, v[16:17]
	s_cbranch_execnz .LBB0_70
.LBB0_69:                               ;   in Loop: Header=BB0_67 Depth=5
	v_add_u32_e32 v18, s59, v22
.LBB0_70:                               ;   in Loop: Header=BB0_67 Depth=5
	v_ashrrev_i32_e32 v19, 31, v18
	v_lshl_add_u64 v[18:19], v[18:19], 2, s[20:21]
	global_load_dword v31, v[18:19], off
	s_andn2_b64 vcc, exec, s[40:41]
	v_mov_b32_e32 v18, v30
	s_cbranch_vccnz .LBB0_66
; %bb.71:                               ;   in Loop: Header=BB0_67 Depth=5
	v_add_u32_e32 v18, s59, v29
	s_branch .LBB0_66
.LBB0_72:                               ;   in Loop: Header=BB0_67 Depth=5
                                        ; implicit-def: $vgpr18
	s_branch .LBB0_69
.LBB0_73:                               ;   in Loop: Header=BB0_65 Depth=4
	s_and_b64 vcc, exec, s[40:41]
	s_cbranch_vccz .LBB0_75
; %bb.74:                               ;   in Loop: Header=BB0_65 Depth=4
	v_add_u32_e32 v18, s58, v17
	v_mad_u64_u32 v[18:19], s[56:57], v18, s15, v[16:17]
	s_cbranch_execnz .LBB0_64
	s_branch .LBB0_76
.LBB0_75:                               ;   in Loop: Header=BB0_65 Depth=4
                                        ; implicit-def: $vgpr18
.LBB0_76:                               ;   in Loop: Header=BB0_65 Depth=4
	v_add_u32_e32 v18, s58, v23
	s_branch .LBB0_64
.LBB0_77:
	s_or_b64 exec, exec, s[42:43]
	s_and_b64 s[8:9], s[44:45], exec
.LBB0_78:
	s_or_b64 exec, exec, s[38:39]
	v_ashrrev_i32_e32 v5, 31, v4
	v_lshl_add_u64 v[8:9], v[4:5], 2, s[18:19]
	global_load_dword v5, v[8:9], off
	s_waitcnt lgkmcnt(0)
	s_cmp_gt_i32 s15, 0
	s_cselect_b64 s[10:11], -1, 0
	s_waitcnt vmcnt(0)
	v_subrev_u32_e32 v5, s14, v5
	v_cmp_eq_u32_e32 vcc, v5, v2
	s_and_b64 s[0:1], s[10:11], vcc
	s_and_saveexec_b64 s[12:13], s[0:1]
	s_cbranch_execz .LBB0_112
; %bb.79:
	s_cmp_eq_u64 s[24:25], 8
	v_cvt_f64_f32_e32 v[8:9], v25
	s_cselect_b64 vcc, -1, 0
	s_mul_i32 s2, s15, s15
	v_cndmask_b32_e32 v7, v9, v7, vcc
	v_cndmask_b32_e32 v6, v8, v6, vcc
	s_cmp_lg_u32 s34, 0
	v_mul_lo_u32 v5, v4, s15
	v_mad_u64_u32 v[8:9], s[2:3], v4, s2, 1
	s_cselect_b64 s[16:17], -1, 0
	v_add_u32_e32 v9, v5, v0
	v_cndmask_b32_e64 v11, 0, 1, s[36:37]
	s_add_i32 s33, s15, 1
	v_mul_lo_u32 v9, s15, v9
	v_cmp_ne_u32_e64 s[2:3], 1, v11
	v_cndmask_b32_e64 v11, 0, 1, s[16:17]
	v_cmp_eq_u32_e64 s[0:1], 0, v0
	v_add_u32_e32 v9, s33, v9
	s_lshl_b32 s35, s15, 6
	s_add_i32 s46, s15, -1
	v_mov_b32_e32 v10, 0
	s_mov_b64 s[18:19], 0
	v_cmp_ne_u32_e64 s[4:5], 1, v11
	s_mov_b64 s[24:25], s[8:9]
                                        ; implicit-def: $sgpr22_sgpr23
	s_branch .LBB0_81
.LBB0_80:                               ;   in Loop: Header=BB0_81 Depth=1
	s_or_b64 exec, exec, s[6:7]
	s_add_i32 s46, s46, -1
	v_cmp_eq_u32_e32 vcc, s15, v13
	s_or_b64 s[18:19], vcc, s[18:19]
	s_andn2_b64 s[6:7], s[22:23], exec
	s_and_b64 s[22:23], s[24:25], exec
	v_add_u32_e32 v8, s33, v8
	v_add_u32_e32 v9, s33, v9
	s_or_b64 s[22:23], s[6:7], s[22:23]
	v_mov_b32_e32 v10, v13
	s_andn2_b64 exec, exec, s[18:19]
	s_cbranch_execz .LBB0_111
.LBB0_81:                               ; =>This Loop Header: Depth=1
                                        ;     Child Loop BB0_91 Depth 2
                                        ;       Child Loop BB0_100 Depth 3
	v_add_u32_e32 v11, v10, v5
	v_mul_lo_u32 v11, v11, s15
	v_add_u32_e32 v12, v11, v10
	v_ashrrev_i32_e32 v13, 31, v12
	v_lshl_add_u64 v[12:13], v[12:13], 2, s[20:21]
	global_load_dword v18, v[12:13], off
	s_mov_b64 s[36:37], -1
	s_and_b64 vcc, exec, s[2:3]
	s_mov_b64 s[6:7], 0
                                        ; implicit-def: $vgpr14
	s_cbranch_vccnz .LBB0_85
; %bb.82:                               ;   in Loop: Header=BB0_81 Depth=1
	s_waitcnt vmcnt(0)
	v_cmp_gt_f32_e32 vcc, 0, v18
	s_nop 1
	v_cndmask_b32_e64 v14, v18, -v18, vcc
	v_cvt_f64_f32_e32 v[14:15], v14
	v_cmp_ge_f64_e32 vcc, v[6:7], v[14:15]
	s_nop 1
	v_cndmask_b32_e32 v14, v18, v24, vcc
	s_and_saveexec_b64 s[6:7], s[0:1]
	s_cbranch_execz .LBB0_84
; %bb.83:                               ;   in Loop: Header=BB0_81 Depth=1
	global_store_dword v[12:13], v14, off
.LBB0_84:                               ;   in Loop: Header=BB0_81 Depth=1
	s_or_b64 exec, exec, s[6:7]
	s_mov_b64 s[36:37], 0
	s_mov_b64 s[6:7], -1
.LBB0_85:                               ;   in Loop: Header=BB0_81 Depth=1
	s_andn2_b64 vcc, exec, s[36:37]
	s_mov_b64 s[36:37], 0
	s_cbranch_vccnz .LBB0_87
; %bb.86:                               ;   in Loop: Header=BB0_81 Depth=1
	s_waitcnt vmcnt(0)
	v_cmp_neq_f32_e32 vcc, 0, v18
	s_andn2_b64 s[6:7], s[6:7], exec
	s_and_b64 s[38:39], vcc, exec
	s_mov_b64 s[36:37], -1
	s_or_b64 s[6:7], s[6:7], s[38:39]
                                        ; implicit-def: $vgpr13
	s_and_saveexec_b64 s[38:39], s[6:7]
	s_xor_b64 s[38:39], exec, s[38:39]
	s_cbranch_execnz .LBB0_88
	s_branch .LBB0_109
.LBB0_87:                               ;   in Loop: Header=BB0_81 Depth=1
	s_waitcnt vmcnt(0)
	v_mov_b32_e32 v18, v14
                                        ; implicit-def: $vgpr13
	s_and_saveexec_b64 s[38:39], s[6:7]
	s_xor_b64 s[38:39], exec, s[38:39]
	s_cbranch_execz .LBB0_109
.LBB0_88:                               ;   in Loop: Header=BB0_81 Depth=1
	v_add_u32_e32 v13, 1, v10
	v_add_u32_e32 v12, v13, v0
	v_cmp_gt_i32_e32 vcc, s15, v12
	s_and_saveexec_b64 s[40:41], vcc
	s_cbranch_execz .LBB0_108
; %bb.89:                               ;   in Loop: Header=BB0_81 Depth=1
	v_cmp_gt_i32_e64 s[6:7], s15, v13
	s_mov_b64 s[42:43], 0
	v_mov_b32_e32 v19, v9
	s_branch .LBB0_91
.LBB0_90:                               ;   in Loop: Header=BB0_91 Depth=2
	s_or_b64 exec, exec, s[44:45]
	v_add_u32_e32 v12, 64, v12
	v_cmp_le_i32_e32 vcc, s15, v12
	s_or_b64 s[42:43], vcc, s[42:43]
	v_add_u32_e32 v19, s35, v19
	s_andn2_b64 exec, exec, s[42:43]
	s_cbranch_execz .LBB0_108
.LBB0_91:                               ;   Parent Loop BB0_81 Depth=1
                                        ; =>  This Loop Header: Depth=2
                                        ;       Child Loop BB0_100 Depth 3
	s_and_b64 vcc, exec, s[16:17]
	v_add_u32_e32 v14, v12, v11
	s_cbranch_vccz .LBB0_106
; %bb.92:                               ;   in Loop: Header=BB0_91 Depth=2
	v_add_u32_e32 v16, v12, v11
	s_cbranch_execnz .LBB0_94
.LBB0_93:                               ;   in Loop: Header=BB0_91 Depth=2
	v_add_u32_e32 v15, v12, v5
	v_mad_u64_u32 v[16:17], s[44:45], v15, s15, v[10:11]
.LBB0_94:                               ;   in Loop: Header=BB0_91 Depth=2
	v_ashrrev_i32_e32 v17, 31, v16
	v_lshl_add_u64 v[16:17], v[16:17], 2, s[20:21]
	global_load_dword v16, v[16:17], off
	s_and_b64 vcc, exec, s[16:17]
	s_cbranch_vccz .LBB0_107
; %bb.95:                               ;   in Loop: Header=BB0_91 Depth=2
	s_cbranch_execnz .LBB0_97
.LBB0_96:                               ;   in Loop: Header=BB0_91 Depth=2
	v_add_u32_e32 v14, v12, v5
	v_mad_u64_u32 v[14:15], s[44:45], v14, s15, v[10:11]
.LBB0_97:                               ;   in Loop: Header=BB0_91 Depth=2
	s_waitcnt vmcnt(0)
	v_div_scale_f32 v15, s[44:45], v18, v18, v16
	v_rcp_f32_e32 v17, v15
	v_div_scale_f32 v20, vcc, v16, v18, v16
	v_fma_f32 v21, -v15, v17, 1.0
	v_fmac_f32_e32 v17, v21, v17
	v_mul_f32_e32 v21, v20, v17
	v_fma_f32 v22, -v15, v21, v20
	v_fmac_f32_e32 v21, v22, v17
	v_fma_f32 v15, -v15, v21, v20
	v_div_fmas_f32 v15, v15, v17, v21
	v_div_fixup_f32 v16, v15, v18, v16
	v_ashrrev_i32_e32 v15, 31, v14
	v_lshl_add_u64 v[14:15], v[14:15], 2, s[20:21]
	global_store_dword v[14:15], v16, off
	s_and_saveexec_b64 s[44:45], s[6:7]
	s_cbranch_execz .LBB0_90
; %bb.98:                               ;   in Loop: Header=BB0_91 Depth=2
	s_mov_b32 s47, s46
	v_mov_b32_e32 v17, v19
	v_mov_b32_e32 v20, v8
	;; [unrolled: 1-line block ×3, first 2 shown]
	s_branch .LBB0_100
.LBB0_99:                               ;   in Loop: Header=BB0_100 Depth=3
	v_ashrrev_i32_e32 v15, 31, v14
	s_add_i32 s47, s47, -1
	s_waitcnt vmcnt(0)
	v_fma_f32 v22, -v16, v23, v25
	v_lshl_add_u64 v[14:15], v[14:15], 2, s[20:21]
	v_add_u32_e32 v21, 1, v21
	v_add_u32_e32 v20, 1, v20
	s_cmp_eq_u32 s47, 0
	v_add_u32_e32 v17, 1, v17
	global_store_dword v[14:15], v22, off
	s_cbranch_scc1 .LBB0_90
.LBB0_100:                              ;   Parent Loop BB0_81 Depth=1
                                        ;     Parent Loop BB0_91 Depth=2
                                        ; =>    This Inner Loop Header: Depth=3
	s_and_b64 vcc, exec, s[4:5]
	v_add_u32_e32 v22, v21, v5
	v_mov_b32_e32 v14, v20
	s_cbranch_vccnz .LBB0_102
; %bb.101:                              ;   in Loop: Header=BB0_100 Depth=3
	v_mad_u64_u32 v[14:15], s[48:49], v22, s15, v[10:11]
.LBB0_102:                              ;   in Loop: Header=BB0_100 Depth=3
	v_ashrrev_i32_e32 v15, 31, v14
	v_lshl_add_u64 v[14:15], v[14:15], 2, s[20:21]
	global_load_dword v23, v[14:15], off
	s_and_b64 vcc, exec, s[4:5]
	v_mov_b32_e32 v14, v17
	s_cbranch_vccnz .LBB0_104
; %bb.103:                              ;   in Loop: Header=BB0_100 Depth=3
	v_mad_u64_u32 v[14:15], s[48:49], v22, s15, v[12:13]
.LBB0_104:                              ;   in Loop: Header=BB0_100 Depth=3
	v_ashrrev_i32_e32 v15, 31, v14
	v_lshl_add_u64 v[14:15], v[14:15], 2, s[20:21]
	global_load_dword v25, v[14:15], off
	s_and_b64 vcc, exec, s[4:5]
	v_mov_b32_e32 v14, v17
	s_cbranch_vccnz .LBB0_99
; %bb.105:                              ;   in Loop: Header=BB0_100 Depth=3
	v_mad_u64_u32 v[14:15], s[48:49], v22, s15, v[12:13]
	s_branch .LBB0_99
.LBB0_106:                              ;   in Loop: Header=BB0_91 Depth=2
                                        ; implicit-def: $vgpr16
	s_branch .LBB0_93
.LBB0_107:                              ;   in Loop: Header=BB0_91 Depth=2
                                        ; implicit-def: $vgpr14
	s_branch .LBB0_96
.LBB0_108:                              ;   in Loop: Header=BB0_81 Depth=1
	s_or_b64 exec, exec, s[40:41]
	s_andn2_b64 s[36:37], s[36:37], exec
.LBB0_109:                              ;   in Loop: Header=BB0_81 Depth=1
	s_or_b64 exec, exec, s[38:39]
	s_andn2_b64 s[6:7], s[24:25], exec
	s_and_b64 s[24:25], s[24:25], exec
	s_or_b64 s[24:25], s[6:7], s[24:25]
	s_and_saveexec_b64 s[6:7], s[36:37]
	s_cbranch_execz .LBB0_80
; %bb.110:                              ;   in Loop: Header=BB0_81 Depth=1
	v_add_u32_e32 v13, 1, v10
	s_or_b64 s[24:25], s[24:25], exec
	s_branch .LBB0_80
.LBB0_111:
	s_or_b64 exec, exec, s[18:19]
	s_andn2_b64 s[0:1], s[8:9], exec
	s_and_b64 s[2:3], s[22:23], exec
	s_or_b64 s[8:9], s[0:1], s[2:3]
.LBB0_112:
	s_or_b64 exec, exec, s[12:13]
	v_add_u32_e32 v8, 1, v4
	v_cmp_lt_i32_e32 vcc, v8, v1
	s_and_saveexec_b64 s[6:7], vcc
	s_cbranch_execz .LBB0_136
; %bb.113:
	v_mul_lo_u32 v9, v4, s15
	v_mul_lo_u32 v4, s15, v9
	s_mul_i32 s25, s15, s15
	v_add_u32_e32 v10, s15, v4
	v_mul_lo_u32 v4, s25, v8
	s_cmp_lg_u32 s34, 0
	v_add3_u32 v11, v4, s15, v0
	v_cndmask_b32_e64 v4, 0, 1, s[10:11]
	v_cmp_gt_i32_e64 s[0:1], s15, v0
	s_cselect_b64 s[12:13], -1, 0
	s_add_i32 s24, s15, 1
	s_add_i32 s33, s15, -1
	s_mov_b64 s[16:17], 0
	v_cmp_ne_u32_e64 s[2:3], 1, v4
	s_branch .LBB0_115
.LBB0_114:                              ;   in Loop: Header=BB0_115 Depth=1
	v_add_u32_e32 v8, 1, v8
	v_cmp_ge_i32_e32 vcc, v8, v1
	s_or_b64 s[16:17], vcc, s[16:17]
	v_add_u32_e32 v11, s25, v11
	s_andn2_b64 exec, exec, s[16:17]
	s_cbranch_execz .LBB0_136
.LBB0_115:                              ; =>This Loop Header: Depth=1
                                        ;     Child Loop BB0_118 Depth 2
                                        ;       Child Loop BB0_121 Depth 3
                                        ;         Child Loop BB0_124 Depth 4
	s_and_b64 vcc, exec, s[2:3]
	s_cbranch_vccnz .LBB0_114
; %bb.116:                              ;   in Loop: Header=BB0_115 Depth=1
	v_mul_lo_u32 v12, v8, s15
	s_mov_b32 s35, 0
	s_mov_b32 s34, s33
	v_mov_b32_e32 v13, v11
	v_mov_b32_e32 v14, v10
	s_branch .LBB0_118
.LBB0_117:                              ;   in Loop: Header=BB0_118 Depth=2
	s_or_b64 exec, exec, s[10:11]
	s_add_i32 s34, s34, -1
	v_add_u32_e32 v14, s24, v14
	v_add_u32_e32 v13, s15, v13
	s_cmp_eq_u32 s36, s15
	s_mov_b32 s35, s36
	s_cbranch_scc1 .LBB0_114
.LBB0_118:                              ;   Parent Loop BB0_115 Depth=1
                                        ; =>  This Loop Header: Depth=2
                                        ;       Child Loop BB0_121 Depth 3
                                        ;         Child Loop BB0_124 Depth 4
	s_add_i32 s36, s35, 1
	s_and_saveexec_b64 s[10:11], s[0:1]
	s_cbranch_execz .LBB0_117
; %bb.119:                              ;   in Loop: Header=BB0_118 Depth=2
	s_cmp_lt_i32 s36, s15
	v_add_u32_e32 v4, s35, v9
	v_mul_lo_u32 v15, v4, s15
	v_add_u32_e32 v4, s35, v12
	s_cselect_b64 s[4:5], -1, 0
	v_mul_lo_u32 v16, v4, s15
	v_cndmask_b32_e64 v4, 0, 1, s[4:5]
	s_mov_b64 s[18:19], 0
	v_cmp_ne_u32_e64 s[4:5], 1, v4
	v_mov_b32_e32 v17, v13
	v_mov_b32_e32 v18, v0
	s_branch .LBB0_121
.LBB0_120:                              ;   in Loop: Header=BB0_121 Depth=3
	v_add_u32_e32 v18, 64, v18
	v_cmp_le_i32_e32 vcc, s15, v18
	s_or_b64 s[18:19], vcc, s[18:19]
	v_add_u32_e32 v17, 64, v17
	s_andn2_b64 exec, exec, s[18:19]
	s_cbranch_execz .LBB0_117
.LBB0_121:                              ;   Parent Loop BB0_115 Depth=1
                                        ;     Parent Loop BB0_118 Depth=2
                                        ; =>    This Loop Header: Depth=3
                                        ;         Child Loop BB0_124 Depth 4
	s_and_b64 vcc, exec, s[4:5]
	s_cbranch_vccnz .LBB0_120
; %bb.122:                              ;   in Loop: Header=BB0_121 Depth=3
	v_add_u32_e32 v4, v18, v12
	v_mul_lo_u32 v19, v4, s15
	v_add_u32_e32 v20, s35, v19
	v_add_u32_e32 v21, v18, v16
	s_mov_b32 s37, 0
	s_mov_b32 s38, s34
	;; [unrolled: 1-line block ×3, first 2 shown]
	s_branch .LBB0_124
.LBB0_123:                              ;   in Loop: Header=BB0_124 Depth=4
	s_waitcnt vmcnt(0)
	v_fma_f32 v6, -v5, v22, v6
	v_ashrrev_i32_e32 v5, 31, v4
	s_add_i32 s39, s39, 1
	s_add_i32 s37, s37, s15
	s_add_i32 s38, s38, -1
	v_lshl_add_u64 v[4:5], v[4:5], 2, s[20:21]
	s_cmp_eq_u32 s38, 0
	global_store_dword v[4:5], v6, off
	s_cbranch_scc1 .LBB0_120
.LBB0_124:                              ;   Parent Loop BB0_115 Depth=1
                                        ;     Parent Loop BB0_118 Depth=2
                                        ;       Parent Loop BB0_121 Depth=3
                                        ; =>      This Inner Loop Header: Depth=4
	s_and_b64 vcc, exec, s[12:13]
	s_cbranch_vccz .LBB0_132
; %bb.125:                              ;   in Loop: Header=BB0_124 Depth=4
	v_add_u32_e32 v4, s39, v15
	v_mov_b32_e32 v6, v20
	s_cbranch_execnz .LBB0_127
.LBB0_126:                              ;   in Loop: Header=BB0_124 Depth=4
	v_add_u32_e32 v4, s37, v14
	v_mov_b32_e32 v6, v21
.LBB0_127:                              ;   in Loop: Header=BB0_124 Depth=4
	v_ashrrev_i32_e32 v5, 31, v4
	v_lshl_add_u64 v[24:25], v[4:5], 2, s[20:21]
	v_ashrrev_i32_e32 v7, 31, v6
	v_lshl_add_u64 v[6:7], v[6:7], 2, s[20:21]
	global_load_dword v5, v[24:25], off
	global_load_dword v22, v[6:7], off
	s_and_b64 vcc, exec, s[12:13]
	v_add_u32_e32 v4, s39, v19
	s_cbranch_vccz .LBB0_133
; %bb.128:                              ;   in Loop: Header=BB0_124 Depth=4
	v_add_u32_e32 v6, s39, v19
	v_add_u32_e32 v23, s37, v17
	s_cbranch_execnz .LBB0_130
.LBB0_129:                              ;   in Loop: Header=BB0_124 Depth=4
	v_add_u32_e32 v6, s37, v17
.LBB0_130:                              ;   in Loop: Header=BB0_124 Depth=4
	v_ashrrev_i32_e32 v7, 31, v6
	v_lshl_add_u64 v[6:7], v[6:7], 2, s[20:21]
	global_load_dword v6, v[6:7], off
	s_and_b64 vcc, exec, s[12:13]
	s_cbranch_vccz .LBB0_134
; %bb.131:                              ;   in Loop: Header=BB0_124 Depth=4
	s_cbranch_execnz .LBB0_123
	s_branch .LBB0_135
.LBB0_132:                              ;   in Loop: Header=BB0_124 Depth=4
                                        ; implicit-def: $vgpr4
	v_mov_b32_e32 v6, v20
	s_branch .LBB0_126
.LBB0_133:                              ;   in Loop: Header=BB0_124 Depth=4
                                        ; implicit-def: $vgpr6
	v_add_u32_e32 v23, s37, v17
	s_branch .LBB0_129
.LBB0_134:                              ;   in Loop: Header=BB0_124 Depth=4
                                        ; implicit-def: $vgpr4
.LBB0_135:                              ;   in Loop: Header=BB0_124 Depth=4
	v_mov_b32_e32 v4, v23
	s_branch .LBB0_123
.LBB0_136:
	s_or_b64 exec, exec, s[6:7]
	s_orn2_b64 s[2:3], s[8:9], exec
.LBB0_137:
	s_or_b64 exec, exec, s[30:31]
	v_cmp_eq_u32_e32 vcc, 0, v0
	s_and_b64 exec, exec, vcc
	s_cbranch_execz .LBB0_143
; %bb.138:
	v_lshl_add_u64 v[0:1], v[2:3], 2, s[28:29]
	v_mov_b32_e32 v3, 1
	buffer_wbl2 sc1
	s_waitcnt vmcnt(0)
	global_store_dword v[0:1], v3, off sc1
	s_and_b64 exec, exec, s[2:3]
	s_cbranch_execz .LBB0_143
; %bb.139:
	s_mov_b64 s[0:1], exec
	v_add_u32_e32 v0, s14, v2
	s_brev_b32 s2, -2
.LBB0_140:                              ; =>This Inner Loop Header: Depth=1
	s_ff1_i32_b64 s3, s[0:1]
	v_readlane_b32 s6, v0, s3
	s_lshl_b64 s[4:5], 1, s3
	s_min_i32 s2, s2, s6
	s_andn2_b64 s[0:1], s[0:1], s[4:5]
	s_cmp_lg_u64 s[0:1], 0
	s_cbranch_scc1 .LBB0_140
; %bb.141:
	v_mbcnt_lo_u32_b32 v0, exec_lo, 0
	v_mbcnt_hi_u32_b32 v0, exec_hi, v0
	v_cmp_eq_u32_e32 vcc, 0, v0
	s_and_saveexec_b64 s[0:1], vcc
	s_xor_b64 s[0:1], exec, s[0:1]
	s_cbranch_execz .LBB0_143
; %bb.142:
	v_mov_b32_e32 v0, 0
	v_mov_b32_e32 v1, s2
	global_atomic_smin v0, v1, s[26:27]
.LBB0_143:
	s_endpgm
	.section	.rodata,"a",@progbits
	.p2align	6, 0x0
	.amdhsa_kernel _ZN9rocsparseL15bsrilu0_generalILj128ELj64ELb1EfEEv20rocsparse_direction_iPKiS3_PT2_S3_iPiS3_S6_21rocsparse_index_base_imNS_24const_host_device_scalarIfEENS8_IdEENS8_IS4_EEb
		.amdhsa_group_segment_fixed_size 0
		.amdhsa_private_segment_fixed_size 0
		.amdhsa_kernarg_size 116
		.amdhsa_user_sgpr_count 2
		.amdhsa_user_sgpr_dispatch_ptr 0
		.amdhsa_user_sgpr_queue_ptr 0
		.amdhsa_user_sgpr_kernarg_segment_ptr 1
		.amdhsa_user_sgpr_dispatch_id 0
		.amdhsa_user_sgpr_kernarg_preload_length 0
		.amdhsa_user_sgpr_kernarg_preload_offset 0
		.amdhsa_user_sgpr_private_segment_size 0
		.amdhsa_uses_dynamic_stack 0
		.amdhsa_enable_private_segment 0
		.amdhsa_system_sgpr_workgroup_id_x 1
		.amdhsa_system_sgpr_workgroup_id_y 0
		.amdhsa_system_sgpr_workgroup_id_z 0
		.amdhsa_system_sgpr_workgroup_info 0
		.amdhsa_system_vgpr_workitem_id 0
		.amdhsa_next_free_vgpr 37
		.amdhsa_next_free_sgpr 68
		.amdhsa_accum_offset 40
		.amdhsa_reserve_vcc 1
		.amdhsa_float_round_mode_32 0
		.amdhsa_float_round_mode_16_64 0
		.amdhsa_float_denorm_mode_32 3
		.amdhsa_float_denorm_mode_16_64 3
		.amdhsa_dx10_clamp 1
		.amdhsa_ieee_mode 1
		.amdhsa_fp16_overflow 0
		.amdhsa_tg_split 0
		.amdhsa_exception_fp_ieee_invalid_op 0
		.amdhsa_exception_fp_denorm_src 0
		.amdhsa_exception_fp_ieee_div_zero 0
		.amdhsa_exception_fp_ieee_overflow 0
		.amdhsa_exception_fp_ieee_underflow 0
		.amdhsa_exception_fp_ieee_inexact 0
		.amdhsa_exception_int_div_zero 0
	.end_amdhsa_kernel
	.section	.text._ZN9rocsparseL15bsrilu0_generalILj128ELj64ELb1EfEEv20rocsparse_direction_iPKiS3_PT2_S3_iPiS3_S6_21rocsparse_index_base_imNS_24const_host_device_scalarIfEENS8_IdEENS8_IS4_EEb,"axG",@progbits,_ZN9rocsparseL15bsrilu0_generalILj128ELj64ELb1EfEEv20rocsparse_direction_iPKiS3_PT2_S3_iPiS3_S6_21rocsparse_index_base_imNS_24const_host_device_scalarIfEENS8_IdEENS8_IS4_EEb,comdat
.Lfunc_end0:
	.size	_ZN9rocsparseL15bsrilu0_generalILj128ELj64ELb1EfEEv20rocsparse_direction_iPKiS3_PT2_S3_iPiS3_S6_21rocsparse_index_base_imNS_24const_host_device_scalarIfEENS8_IdEENS8_IS4_EEb, .Lfunc_end0-_ZN9rocsparseL15bsrilu0_generalILj128ELj64ELb1EfEEv20rocsparse_direction_iPKiS3_PT2_S3_iPiS3_S6_21rocsparse_index_base_imNS_24const_host_device_scalarIfEENS8_IdEENS8_IS4_EEb
                                        ; -- End function
	.set _ZN9rocsparseL15bsrilu0_generalILj128ELj64ELb1EfEEv20rocsparse_direction_iPKiS3_PT2_S3_iPiS3_S6_21rocsparse_index_base_imNS_24const_host_device_scalarIfEENS8_IdEENS8_IS4_EEb.num_vgpr, 37
	.set _ZN9rocsparseL15bsrilu0_generalILj128ELj64ELb1EfEEv20rocsparse_direction_iPKiS3_PT2_S3_iPiS3_S6_21rocsparse_index_base_imNS_24const_host_device_scalarIfEENS8_IdEENS8_IS4_EEb.num_agpr, 0
	.set _ZN9rocsparseL15bsrilu0_generalILj128ELj64ELb1EfEEv20rocsparse_direction_iPKiS3_PT2_S3_iPiS3_S6_21rocsparse_index_base_imNS_24const_host_device_scalarIfEENS8_IdEENS8_IS4_EEb.numbered_sgpr, 68
	.set _ZN9rocsparseL15bsrilu0_generalILj128ELj64ELb1EfEEv20rocsparse_direction_iPKiS3_PT2_S3_iPiS3_S6_21rocsparse_index_base_imNS_24const_host_device_scalarIfEENS8_IdEENS8_IS4_EEb.num_named_barrier, 0
	.set _ZN9rocsparseL15bsrilu0_generalILj128ELj64ELb1EfEEv20rocsparse_direction_iPKiS3_PT2_S3_iPiS3_S6_21rocsparse_index_base_imNS_24const_host_device_scalarIfEENS8_IdEENS8_IS4_EEb.private_seg_size, 0
	.set _ZN9rocsparseL15bsrilu0_generalILj128ELj64ELb1EfEEv20rocsparse_direction_iPKiS3_PT2_S3_iPiS3_S6_21rocsparse_index_base_imNS_24const_host_device_scalarIfEENS8_IdEENS8_IS4_EEb.uses_vcc, 1
	.set _ZN9rocsparseL15bsrilu0_generalILj128ELj64ELb1EfEEv20rocsparse_direction_iPKiS3_PT2_S3_iPiS3_S6_21rocsparse_index_base_imNS_24const_host_device_scalarIfEENS8_IdEENS8_IS4_EEb.uses_flat_scratch, 0
	.set _ZN9rocsparseL15bsrilu0_generalILj128ELj64ELb1EfEEv20rocsparse_direction_iPKiS3_PT2_S3_iPiS3_S6_21rocsparse_index_base_imNS_24const_host_device_scalarIfEENS8_IdEENS8_IS4_EEb.has_dyn_sized_stack, 0
	.set _ZN9rocsparseL15bsrilu0_generalILj128ELj64ELb1EfEEv20rocsparse_direction_iPKiS3_PT2_S3_iPiS3_S6_21rocsparse_index_base_imNS_24const_host_device_scalarIfEENS8_IdEENS8_IS4_EEb.has_recursion, 0
	.set _ZN9rocsparseL15bsrilu0_generalILj128ELj64ELb1EfEEv20rocsparse_direction_iPKiS3_PT2_S3_iPiS3_S6_21rocsparse_index_base_imNS_24const_host_device_scalarIfEENS8_IdEENS8_IS4_EEb.has_indirect_call, 0
	.section	.AMDGPU.csdata,"",@progbits
; Kernel info:
; codeLenInByte = 3684
; TotalNumSgprs: 74
; NumVgprs: 37
; NumAgprs: 0
; TotalNumVgprs: 37
; ScratchSize: 0
; MemoryBound: 0
; FloatMode: 240
; IeeeMode: 1
; LDSByteSize: 0 bytes/workgroup (compile time only)
; SGPRBlocks: 9
; VGPRBlocks: 4
; NumSGPRsForWavesPerEU: 74
; NumVGPRsForWavesPerEU: 37
; AccumOffset: 40
; Occupancy: 8
; WaveLimiterHint : 1
; COMPUTE_PGM_RSRC2:SCRATCH_EN: 0
; COMPUTE_PGM_RSRC2:USER_SGPR: 2
; COMPUTE_PGM_RSRC2:TRAP_HANDLER: 0
; COMPUTE_PGM_RSRC2:TGID_X_EN: 1
; COMPUTE_PGM_RSRC2:TGID_Y_EN: 0
; COMPUTE_PGM_RSRC2:TGID_Z_EN: 0
; COMPUTE_PGM_RSRC2:TIDIG_COMP_CNT: 0
; COMPUTE_PGM_RSRC3_GFX90A:ACCUM_OFFSET: 9
; COMPUTE_PGM_RSRC3_GFX90A:TG_SPLIT: 0
	.section	.text._ZN9rocsparseL15bsrilu0_generalILj128ELj32ELb0EfEEv20rocsparse_direction_iPKiS3_PT2_S3_iPiS3_S6_21rocsparse_index_base_imNS_24const_host_device_scalarIfEENS8_IdEENS8_IS4_EEb,"axG",@progbits,_ZN9rocsparseL15bsrilu0_generalILj128ELj32ELb0EfEEv20rocsparse_direction_iPKiS3_PT2_S3_iPiS3_S6_21rocsparse_index_base_imNS_24const_host_device_scalarIfEENS8_IdEENS8_IS4_EEb,comdat
	.globl	_ZN9rocsparseL15bsrilu0_generalILj128ELj32ELb0EfEEv20rocsparse_direction_iPKiS3_PT2_S3_iPiS3_S6_21rocsparse_index_base_imNS_24const_host_device_scalarIfEENS8_IdEENS8_IS4_EEb ; -- Begin function _ZN9rocsparseL15bsrilu0_generalILj128ELj32ELb0EfEEv20rocsparse_direction_iPKiS3_PT2_S3_iPiS3_S6_21rocsparse_index_base_imNS_24const_host_device_scalarIfEENS8_IdEENS8_IS4_EEb
	.p2align	8
	.type	_ZN9rocsparseL15bsrilu0_generalILj128ELj32ELb0EfEEv20rocsparse_direction_iPKiS3_PT2_S3_iPiS3_S6_21rocsparse_index_base_imNS_24const_host_device_scalarIfEENS8_IdEENS8_IS4_EEb,@function
_ZN9rocsparseL15bsrilu0_generalILj128ELj32ELb0EfEEv20rocsparse_direction_iPKiS3_PT2_S3_iPiS3_S6_21rocsparse_index_base_imNS_24const_host_device_scalarIfEENS8_IdEENS8_IS4_EEb: ; @_ZN9rocsparseL15bsrilu0_generalILj128ELj32ELb0EfEEv20rocsparse_direction_iPKiS3_PT2_S3_iPiS3_S6_21rocsparse_index_base_imNS_24const_host_device_scalarIfEENS8_IdEENS8_IS4_EEb
; %bb.0:
	s_load_dword s3, s[0:1], 0x70
	s_load_dwordx2 s[14:15], s[0:1], 0x48
	s_load_dwordx8 s[24:31], s[0:1], 0x50
	s_waitcnt lgkmcnt(0)
	s_bitcmp1_b32 s3, 0
	s_cselect_b64 s[4:5], -1, 0
	s_cmp_eq_u32 s15, 0
	s_cselect_b64 s[6:7], -1, 0
	s_cmp_lg_u32 s15, 0
	s_cselect_b64 s[36:37], -1, 0
	s_or_b64 s[4:5], s[6:7], s[4:5]
	s_xor_b64 s[8:9], s[4:5], -1
	s_and_b64 s[10:11], s[6:7], exec
	s_cselect_b32 s11, 0, s29
	s_cselect_b32 s10, 0, s28
	s_and_b64 vcc, exec, s[4:5]
	s_cbranch_vccnz .LBB1_2
; %bb.1:
	s_load_dword s3, s[26:27], 0x0
	s_mov_b64 s[10:11], s[28:29]
	s_waitcnt lgkmcnt(0)
	v_mov_b32_e32 v25, s3
	s_branch .LBB1_3
.LBB1_2:
	v_mov_b32_e32 v1, s26
	v_cndmask_b32_e64 v25, v1, 0, s[6:7]
.LBB1_3:
	v_cndmask_b32_e64 v1, 0, 1, s[8:9]
	v_cmp_ne_u32_e64 s[4:5], 1, v1
	s_andn2_b64 vcc, exec, s[8:9]
	v_mov_b64_e32 v[6:7], s[10:11]
	s_cbranch_vccnz .LBB1_5
; %bb.4:
	v_mov_b64_e32 v[2:3], s[28:29]
	flat_load_dwordx2 v[6:7], v[2:3]
.LBB1_5:
	s_and_b64 vcc, exec, s[4:5]
	s_cbranch_vccnz .LBB1_7
; %bb.6:
	s_load_dword s3, s[30:31], 0x0
	s_waitcnt lgkmcnt(0)
	v_mov_b32_e32 v24, s3
	s_branch .LBB1_8
.LBB1_7:
	v_mov_b32_e32 v1, s30
	v_cndmask_b32_e64 v24, v1, 0, s[6:7]
.LBB1_8:
	s_load_dwordx2 s[34:35], s[0:1], 0x0
	s_lshl_b32 s2, s2, 2
	v_lshrrev_b32_e32 v1, 5, v0
	s_and_b32 s2, s2, 0x7fffffc
	v_or_b32_e32 v1, s2, v1
	s_waitcnt lgkmcnt(0)
	v_cmp_gt_i32_e32 vcc, s35, v1
	s_and_saveexec_b64 s[2:3], vcc
	s_cbranch_execz .LBB1_141
; %bb.9:
	s_load_dwordx4 s[28:31], s[0:1], 0x30
	s_load_dwordx2 s[26:27], s[0:1], 0x40
	v_lshlrev_b32_e32 v1, 2, v1
	s_load_dwordx8 s[16:23], s[0:1], 0x8
	v_and_b32_e32 v0, 31, v0
	s_waitcnt lgkmcnt(0)
	global_load_dword v2, v1, s[30:31]
	s_mov_b64 s[2:3], -1
	s_waitcnt vmcnt(0)
	v_ashrrev_i32_e32 v3, 31, v2
	v_lshl_add_u64 v[4:5], v[2:3], 2, s[22:23]
	global_load_dword v4, v[4:5], off
	s_waitcnt vmcnt(0)
	v_cmp_ne_u32_e32 vcc, -1, v4
	s_and_saveexec_b64 s[30:31], vcc
	s_cbranch_execz .LBB1_135
; %bb.10:
	v_lshl_add_u64 v[8:9], v[2:3], 2, s[16:17]
	global_load_dwordx2 v[8:9], v[8:9], off
	s_load_dword s15, s[0:1], 0x28
	s_mov_b64 s[8:9], 0
	s_waitcnt vmcnt(0)
	v_subrev_u32_e32 v8, s14, v8
	v_subrev_u32_e32 v1, s14, v9
	v_cmp_lt_i32_e32 vcc, v8, v4
	s_and_saveexec_b64 s[38:39], vcc
	s_cbranch_execz .LBB1_76
; %bb.11:
	s_waitcnt lgkmcnt(0)
	s_cmp_gt_i32 s15, 0
	s_cselect_b64 s[6:7], -1, 0
	v_add_u32_e32 v10, v8, v0
	v_mad_u64_u32 v[14:15], s[8:9], s15, v8, v[0:1]
	v_cndmask_b32_e64 v9, 0, 1, s[6:7]
	s_cmp_lg_u32 s34, 0
	v_ashrrev_i32_e32 v11, 31, v10
	v_mul_lo_u32 v5, s15, v14
	v_cmp_ne_u32_e64 s[6:7], 1, v9
	v_mbcnt_lo_u32_b32 v9, -1, 0
	s_cselect_b64 s[40:41], -1, 0
	v_cmp_gt_i32_e64 s[0:1], s15, v0
	v_cmp_le_i32_e64 s[2:3], s15, v0
	v_cmp_lt_i32_e64 s[4:5], v10, v1
	s_add_i32 s33, s35, 1
	v_lshl_add_u64 v[12:13], v[10:11], 2, s[18:19]
	s_mul_i32 s35, s15, s15
	s_add_i32 s60, s15, 1
	v_add_u32_e32 v11, 1, v5
	s_lshl_b32 s61, s15, 5
	s_add_i32 s62, s15, -1
	s_mov_b64 s[48:49], 0
	s_mov_b64 s[42:43], 0
	v_mbcnt_hi_u32_b32 v26, -1, v9
                                        ; implicit-def: $sgpr44_sgpr45
                                        ; implicit-def: $sgpr46_sgpr47
	s_branch .LBB1_14
.LBB1_12:                               ;   in Loop: Header=BB1_14 Depth=1
	s_or_b64 exec, exec, s[10:11]
	s_andn2_b64 s[10:11], s[46:47], exec
	s_and_b64 s[12:13], s[48:49], exec
	s_or_b64 s[46:47], s[10:11], s[12:13]
.LBB1_13:                               ;   in Loop: Header=BB1_14 Depth=1
	s_or_b64 exec, exec, s[50:51]
	v_add_u32_e32 v8, 1, v8
	v_cmp_ge_i32_e32 vcc, v8, v4
	s_xor_b64 s[8:9], s[8:9], -1
	s_or_b64 s[8:9], s[8:9], vcc
	s_and_b64 s[8:9], exec, s[8:9]
	s_or_b64 s[42:43], s[8:9], s[42:43]
	s_andn2_b64 s[8:9], s[44:45], exec
	s_and_b64 s[10:11], s[46:47], exec
	v_add_u32_e32 v11, s35, v11
	v_add_u32_e32 v5, s35, v5
	s_or_b64 s[44:45], s[8:9], s[10:11]
	s_mov_b64 s[48:49], s[46:47]
	s_andn2_b64 exec, exec, s[42:43]
	s_cbranch_execz .LBB1_75
.LBB1_14:                               ; =>This Loop Header: Depth=1
                                        ;     Child Loop BB1_17 Depth 2
                                        ;     Child Loop BB1_22 Depth 2
                                        ;       Child Loop BB1_27 Depth 3
                                        ;         Child Loop BB1_36 Depth 4
                                        ;     Child Loop BB1_49 Depth 2
                                        ;       Child Loop BB1_54 Depth 3
                                        ;       Child Loop BB1_61 Depth 3
                                        ;         Child Loop BB1_63 Depth 4
                                        ;           Child Loop BB1_65 Depth 5
	v_ashrrev_i32_e32 v9, 31, v8
	v_lshl_add_u64 v[14:15], v[8:9], 2, s[18:19]
	global_load_dword v9, v[14:15], off
	s_or_b64 s[46:47], s[46:47], exec
	s_waitcnt vmcnt(0)
	v_subrev_u32_e32 v14, s14, v9
	v_ashrrev_i32_e32 v15, 31, v14
	s_waitcnt lgkmcnt(0)
	v_lshl_add_u64 v[16:17], v[14:15], 2, s[22:23]
	global_load_dword v17, v[16:17], off
	s_waitcnt vmcnt(0)
	v_cmp_ne_u32_e64 s[8:9], -1, v17
	s_and_saveexec_b64 s[50:51], s[8:9]
	s_cbranch_execz .LBB1_13
; %bb.15:                               ;   in Loop: Header=BB1_14 Depth=1
	v_lshlrev_b64 v[14:15], 2, v[14:15]
	v_lshl_add_u64 v[18:19], s[16:17], 0, v[14:15]
	v_lshl_add_u64 v[14:15], s[28:29], 0, v[14:15]
	global_load_dword v19, v[18:19], off offset:4
	s_nop 0
	global_load_dword v9, v[14:15], off sc1
	s_waitcnt vmcnt(0)
	v_cmp_eq_u32_e32 vcc, 0, v9
	s_and_saveexec_b64 s[10:11], vcc
	s_cbranch_execz .LBB1_18
; %bb.16:                               ;   in Loop: Header=BB1_14 Depth=1
	s_mov_b64 s[12:13], 0
.LBB1_17:                               ;   Parent Loop BB1_14 Depth=1
                                        ; =>  This Inner Loop Header: Depth=2
	global_load_dword v9, v[14:15], off sc1
	s_waitcnt vmcnt(0)
	v_cmp_ne_u32_e32 vcc, 0, v9
	s_or_b64 s[12:13], vcc, s[12:13]
	s_andn2_b64 exec, exec, s[12:13]
	s_cbranch_execnz .LBB1_17
.LBB1_18:                               ;   in Loop: Header=BB1_14 Depth=1
	s_or_b64 exec, exec, s[10:11]
	s_and_b64 vcc, exec, s[6:7]
	v_mul_lo_u32 v9, v8, s15
	buffer_inv sc1
	s_cbranch_vccnz .LBB1_45
; %bb.19:                               ;   in Loop: Header=BB1_14 Depth=1
	v_mad_u64_u32 v[14:15], s[10:11], s35, v17, 1
	v_mul_lo_u32 v27, v17, s15
	v_mov_b32_e32 v16, 0
	s_mov_b64 s[52:53], 0
	s_mov_b32 s63, s62
	v_mov_b32_e32 v15, v11
	s_branch .LBB1_22
.LBB1_20:                               ;   in Loop: Header=BB1_22 Depth=2
	s_or_b64 exec, exec, s[56:57]
	v_mov_b32_e32 v16, v28
.LBB1_21:                               ;   in Loop: Header=BB1_22 Depth=2
	s_or_b64 exec, exec, s[54:55]
	s_add_i32 s63, s63, -1
	v_cmp_eq_u32_e32 vcc, s15, v16
	v_add_u32_e32 v14, s60, v14
	s_or_b64 s[52:53], vcc, s[52:53]
	v_add_u32_e32 v15, 1, v15
	s_andn2_b64 exec, exec, s[52:53]
	s_cbranch_execz .LBB1_44
.LBB1_22:                               ;   Parent Loop BB1_14 Depth=1
                                        ; =>  This Loop Header: Depth=2
                                        ;       Child Loop BB1_27 Depth 3
                                        ;         Child Loop BB1_36 Depth 4
	v_add_u32_e32 v28, 1, v16
	s_and_saveexec_b64 s[10:11], s[2:3]
	s_xor_b64 s[10:11], exec, s[10:11]
; %bb.23:                               ;   in Loop: Header=BB1_22 Depth=2
	v_add_u32_e32 v16, 1, v16
                                        ; implicit-def: $vgpr28
; %bb.24:                               ;   in Loop: Header=BB1_22 Depth=2
	s_andn2_saveexec_b64 s[54:55], s[10:11]
	s_cbranch_execz .LBB1_21
; %bb.25:                               ;   in Loop: Header=BB1_22 Depth=2
	v_add_u32_e32 v18, v16, v27
	v_mad_u64_u32 v[20:21], s[10:11], v18, s15, v[16:17]
	v_ashrrev_i32_e32 v21, 31, v20
	v_lshl_add_u64 v[20:21], v[20:21], 2, s[20:21]
	global_load_dword v29, v[20:21], off
	v_add_u32_e32 v18, v16, v9
	v_mul_lo_u32 v30, v18, s15
	v_cmp_gt_i32_e64 s[10:11], s15, v28
	s_mov_b64 s[56:57], 0
	v_mov_b32_e32 v31, v15
	v_mov_b32_e32 v18, v0
	s_branch .LBB1_27
.LBB1_26:                               ;   in Loop: Header=BB1_27 Depth=3
	s_or_b64 exec, exec, s[58:59]
	v_add_u32_e32 v18, 32, v18
	v_cmp_le_i32_e32 vcc, s15, v18
	s_or_b64 s[56:57], vcc, s[56:57]
	v_add_u32_e32 v31, s61, v31
	s_andn2_b64 exec, exec, s[56:57]
	s_cbranch_execz .LBB1_20
.LBB1_27:                               ;   Parent Loop BB1_14 Depth=1
                                        ;     Parent Loop BB1_22 Depth=2
                                        ; =>    This Loop Header: Depth=3
                                        ;         Child Loop BB1_36 Depth 4
	s_and_b64 vcc, exec, s[40:41]
	v_add_u32_e32 v20, v18, v30
	s_cbranch_vccz .LBB1_42
; %bb.28:                               ;   in Loop: Header=BB1_27 Depth=3
	v_add_u32_e32 v22, v18, v30
	v_add_u32_e32 v21, v18, v9
	s_cbranch_execnz .LBB1_30
.LBB1_29:                               ;   in Loop: Header=BB1_27 Depth=3
	v_mad_u64_u32 v[22:23], s[12:13], v21, s15, v[16:17]
.LBB1_30:                               ;   in Loop: Header=BB1_27 Depth=3
	v_ashrrev_i32_e32 v23, 31, v22
	v_lshl_add_u64 v[22:23], v[22:23], 2, s[20:21]
	global_load_dword v22, v[22:23], off
	s_and_b64 vcc, exec, s[40:41]
	s_cbranch_vccz .LBB1_43
; %bb.31:                               ;   in Loop: Header=BB1_27 Depth=3
	s_cbranch_execnz .LBB1_33
.LBB1_32:                               ;   in Loop: Header=BB1_27 Depth=3
	v_mad_u64_u32 v[20:21], s[12:13], v21, s15, v[16:17]
.LBB1_33:                               ;   in Loop: Header=BB1_27 Depth=3
	s_waitcnt vmcnt(0)
	v_div_scale_f32 v21, s[12:13], v29, v29, v22
	v_rcp_f32_e32 v23, v21
	v_div_scale_f32 v32, vcc, v22, v29, v22
	v_fma_f32 v33, -v21, v23, 1.0
	v_fmac_f32_e32 v23, v33, v23
	v_mul_f32_e32 v33, v32, v23
	v_fma_f32 v34, -v21, v33, v32
	v_fmac_f32_e32 v33, v34, v23
	v_fma_f32 v21, -v21, v33, v32
	v_div_fmas_f32 v21, v21, v23, v33
	v_div_fixup_f32 v22, v21, v29, v22
	v_ashrrev_i32_e32 v21, 31, v20
	v_lshl_add_u64 v[20:21], v[20:21], 2, s[20:21]
	global_store_dword v[20:21], v22, off
	s_and_saveexec_b64 s[58:59], s[10:11]
	s_cbranch_execz .LBB1_26
; %bb.34:                               ;   in Loop: Header=BB1_27 Depth=3
	s_mov_b32 s64, s63
	v_mov_b32_e32 v23, v31
	v_mov_b32_e32 v32, v14
	;; [unrolled: 1-line block ×3, first 2 shown]
	s_branch .LBB1_36
.LBB1_35:                               ;   in Loop: Header=BB1_36 Depth=4
	v_ashrrev_i32_e32 v21, 31, v20
	s_add_i32 s64, s64, -1
	s_waitcnt vmcnt(0)
	v_fma_f32 v34, -v22, v34, v36
	v_lshl_add_u64 v[20:21], v[20:21], 2, s[20:21]
	v_add_u32_e32 v33, 1, v33
	v_add_u32_e32 v32, 1, v32
	s_cmp_eq_u32 s64, 0
	v_add_u32_e32 v23, 1, v23
	global_store_dword v[20:21], v34, off
	s_cbranch_scc1 .LBB1_26
.LBB1_36:                               ;   Parent Loop BB1_14 Depth=1
                                        ;     Parent Loop BB1_22 Depth=2
                                        ;       Parent Loop BB1_27 Depth=3
                                        ; =>      This Inner Loop Header: Depth=4
	v_cndmask_b32_e64 v20, 0, 1, s[40:41]
	v_cmp_ne_u32_e64 s[12:13], 1, v20
	s_andn2_b64 vcc, exec, s[40:41]
	v_mov_b32_e32 v20, v32
	s_cbranch_vccnz .LBB1_38
; %bb.37:                               ;   in Loop: Header=BB1_36 Depth=4
	v_add_u32_e32 v20, v33, v27
	v_mad_u64_u32 v[20:21], s[66:67], v20, s15, v[16:17]
.LBB1_38:                               ;   in Loop: Header=BB1_36 Depth=4
	v_ashrrev_i32_e32 v21, 31, v20
	v_lshl_add_u64 v[20:21], v[20:21], 2, s[20:21]
	global_load_dword v34, v[20:21], off
	s_and_b64 vcc, exec, s[12:13]
	v_add_u32_e32 v35, v33, v9
	v_mov_b32_e32 v20, v23
	s_cbranch_vccnz .LBB1_40
; %bb.39:                               ;   in Loop: Header=BB1_36 Depth=4
	v_mad_u64_u32 v[20:21], s[66:67], v35, s15, v[18:19]
.LBB1_40:                               ;   in Loop: Header=BB1_36 Depth=4
	v_ashrrev_i32_e32 v21, 31, v20
	v_lshl_add_u64 v[20:21], v[20:21], 2, s[20:21]
	global_load_dword v36, v[20:21], off
	s_and_b64 vcc, exec, s[12:13]
	v_mov_b32_e32 v20, v23
	s_cbranch_vccnz .LBB1_35
; %bb.41:                               ;   in Loop: Header=BB1_36 Depth=4
	v_mad_u64_u32 v[20:21], s[12:13], v35, s15, v[18:19]
	s_branch .LBB1_35
.LBB1_42:                               ;   in Loop: Header=BB1_27 Depth=3
                                        ; implicit-def: $vgpr22
	v_add_u32_e32 v21, v18, v9
	s_branch .LBB1_29
.LBB1_43:                               ;   in Loop: Header=BB1_27 Depth=3
                                        ; implicit-def: $vgpr20
	s_branch .LBB1_32
.LBB1_44:                               ;   in Loop: Header=BB1_14 Depth=1
	s_or_b64 exec, exec, s[52:53]
.LBB1_45:                               ;   in Loop: Header=BB1_14 Depth=1
	v_subrev_u32_e32 v20, s14, v19
	v_add_u32_e32 v14, 1, v17
	v_cmp_lt_i32_e32 vcc, v14, v20
	s_and_saveexec_b64 s[10:11], vcc
	s_cbranch_execz .LBB1_12
; %bb.46:                               ;   in Loop: Header=BB1_14 Depth=1
	v_mul_lo_u32 v21, s35, v14
	s_mov_b64 s[12:13], 0
	s_branch .LBB1_49
.LBB1_47:                               ;   in Loop: Header=BB1_49 Depth=2
	s_or_b64 exec, exec, s[52:53]
.LBB1_48:                               ;   in Loop: Header=BB1_49 Depth=2
	v_add_u32_e32 v14, 1, v14
	v_cmp_ge_i32_e32 vcc, v14, v20
	s_or_b64 s[12:13], vcc, s[12:13]
	v_add_u32_e32 v21, s35, v21
	s_andn2_b64 exec, exec, s[12:13]
	s_cbranch_execz .LBB1_12
.LBB1_49:                               ;   Parent Loop BB1_14 Depth=1
                                        ; =>  This Loop Header: Depth=2
                                        ;       Child Loop BB1_54 Depth 3
                                        ;       Child Loop BB1_61 Depth 3
                                        ;         Child Loop BB1_63 Depth 4
                                        ;           Child Loop BB1_65 Depth 5
	v_ashrrev_i32_e32 v15, 31, v14
	s_waitcnt lgkmcnt(0)
	v_lshl_add_u64 v[16:17], v[14:15], 2, s[18:19]
	global_load_dword v15, v[16:17], off
	v_mov_b32_e32 v17, s33
	s_and_saveexec_b64 s[52:53], s[4:5]
	s_cbranch_execz .LBB1_51
; %bb.50:                               ;   in Loop: Header=BB1_49 Depth=2
	global_load_dword v16, v[12:13], off
	s_waitcnt vmcnt(0)
	v_subrev_u32_e32 v17, s14, v16
.LBB1_51:                               ;   in Loop: Header=BB1_49 Depth=2
	s_or_b64 exec, exec, s[52:53]
	s_waitcnt vmcnt(0)
	v_subrev_u32_e32 v15, s14, v15
	v_cmp_lt_i32_e32 vcc, v17, v15
	v_mov_b32_e32 v18, v10
	s_and_saveexec_b64 s[52:53], vcc
	s_cbranch_execz .LBB1_57
; %bb.52:                               ;   in Loop: Header=BB1_49 Depth=2
	s_mov_b64 s[54:55], 0
	v_mov_b32_e32 v16, v10
	s_branch .LBB1_54
.LBB1_53:                               ;   in Loop: Header=BB1_54 Depth=3
	s_or_b64 exec, exec, s[56:57]
	v_cmp_ge_i32_e32 vcc, v17, v15
	s_or_b64 s[54:55], vcc, s[54:55]
	v_mov_b32_e32 v16, v18
	s_andn2_b64 exec, exec, s[54:55]
	s_cbranch_execz .LBB1_56
.LBB1_54:                               ;   Parent Loop BB1_14 Depth=1
                                        ;     Parent Loop BB1_49 Depth=2
                                        ; =>    This Inner Loop Header: Depth=3
	v_add_u32_e32 v18, 32, v16
	v_cmp_lt_i32_e32 vcc, v18, v1
	v_mov_b32_e32 v17, s33
	s_and_saveexec_b64 s[56:57], vcc
	s_cbranch_execz .LBB1_53
; %bb.55:                               ;   in Loop: Header=BB1_54 Depth=3
	v_ashrrev_i32_e32 v17, 31, v16
	v_lshl_add_u64 v[16:17], v[16:17], 2, s[18:19]
	global_load_dword v16, v[16:17], off offset:128
	s_waitcnt vmcnt(0)
	v_subrev_u32_e32 v17, s14, v16
	s_branch .LBB1_53
.LBB1_56:                               ;   in Loop: Header=BB1_49 Depth=2
	s_or_b64 exec, exec, s[54:55]
.LBB1_57:                               ;   in Loop: Header=BB1_49 Depth=2
	s_or_b64 exec, exec, s[52:53]
	v_cmp_eq_u32_e32 vcc, v17, v15
	s_cbranch_vccz .LBB1_48
; %bb.58:                               ;   in Loop: Header=BB1_49 Depth=2
	s_ff1_i32_b64 s52, vcc
	v_and_or_b32 v15, v26, 64, s52
	v_lshlrev_b32_e32 v15, 2, v15
	ds_bpermute_b32 v16, v15, v18
	s_and_saveexec_b64 s[52:53], s[0:1]
	s_cbranch_execz .LBB1_47
; %bb.59:                               ;   in Loop: Header=BB1_49 Depth=2
	v_mul_lo_u32 v15, v14, s15
	s_waitcnt lgkmcnt(0)
	v_mul_lo_u32 v17, v16, s15
	s_mov_b64 s[54:55], 0
	v_mov_b32_e32 v22, v5
	v_mov_b32_e32 v16, v0
	s_branch .LBB1_61
.LBB1_60:                               ;   in Loop: Header=BB1_61 Depth=3
	v_add_u32_e32 v16, 32, v16
	v_cmp_le_i32_e32 vcc, s15, v16
	s_or_b64 s[54:55], vcc, s[54:55]
	v_add_u32_e32 v22, s61, v22
	s_andn2_b64 exec, exec, s[54:55]
	s_cbranch_execz .LBB1_47
.LBB1_61:                               ;   Parent Loop BB1_14 Depth=1
                                        ;     Parent Loop BB1_49 Depth=2
                                        ; =>    This Loop Header: Depth=3
                                        ;         Child Loop BB1_63 Depth 4
                                        ;           Child Loop BB1_65 Depth 5
	v_add_u32_e32 v18, v16, v17
	v_mul_lo_u32 v23, v18, s15
	s_mov_b32 s58, 0
	v_mov_b32_e32 v27, v21
	s_branch .LBB1_63
.LBB1_62:                               ;   in Loop: Header=BB1_63 Depth=4
	v_ashrrev_i32_e32 v19, 31, v18
	v_lshl_add_u64 v[18:19], v[18:19], 2, s[20:21]
	global_load_dword v29, v[18:19], off
	s_add_i32 s58, s58, 1
	s_cmp_eq_u32 s58, s15
	v_add_u32_e32 v27, 1, v27
	s_waitcnt vmcnt(0)
	v_sub_f32_e32 v28, v29, v28
	global_store_dword v[18:19], v28, off
	s_cbranch_scc1 .LBB1_60
.LBB1_63:                               ;   Parent Loop BB1_14 Depth=1
                                        ;     Parent Loop BB1_49 Depth=2
                                        ;       Parent Loop BB1_61 Depth=3
                                        ; =>      This Loop Header: Depth=4
                                        ;           Child Loop BB1_65 Depth 5
	v_add_u32_e32 v18, s58, v15
	v_mul_lo_u32 v29, v18, s15
	v_mov_b32_e32 v28, 0
	v_mov_b32_e32 v30, v27
	s_mov_b32 s59, 0
	s_branch .LBB1_65
.LBB1_64:                               ;   in Loop: Header=BB1_65 Depth=5
	v_ashrrev_i32_e32 v19, 31, v18
	v_lshl_add_u64 v[18:19], v[18:19], 2, s[20:21]
	global_load_dword v18, v[18:19], off
	s_add_i32 s59, s59, 1
	s_cmp_eq_u32 s15, s59
	v_add_u32_e32 v30, s15, v30
	s_waitcnt vmcnt(0)
	v_fmac_f32_e32 v28, v31, v18
	s_cbranch_scc1 .LBB1_71
.LBB1_65:                               ;   Parent Loop BB1_14 Depth=1
                                        ;     Parent Loop BB1_49 Depth=2
                                        ;       Parent Loop BB1_61 Depth=3
                                        ;         Parent Loop BB1_63 Depth=4
                                        ; =>        This Inner Loop Header: Depth=5
	s_and_b64 vcc, exec, s[40:41]
	s_cbranch_vccz .LBB1_70
; %bb.66:                               ;   in Loop: Header=BB1_65 Depth=5
	v_add_u32_e32 v18, s59, v9
	v_mad_u64_u32 v[18:19], s[56:57], v18, s15, v[16:17]
	s_cbranch_execnz .LBB1_68
.LBB1_67:                               ;   in Loop: Header=BB1_65 Depth=5
	v_add_u32_e32 v18, s59, v22
.LBB1_68:                               ;   in Loop: Header=BB1_65 Depth=5
	v_ashrrev_i32_e32 v19, 31, v18
	v_lshl_add_u64 v[18:19], v[18:19], 2, s[20:21]
	global_load_dword v31, v[18:19], off
	s_andn2_b64 vcc, exec, s[40:41]
	v_mov_b32_e32 v18, v30
	s_cbranch_vccnz .LBB1_64
; %bb.69:                               ;   in Loop: Header=BB1_65 Depth=5
	v_add_u32_e32 v18, s59, v29
	s_branch .LBB1_64
.LBB1_70:                               ;   in Loop: Header=BB1_65 Depth=5
                                        ; implicit-def: $vgpr18
	s_branch .LBB1_67
.LBB1_71:                               ;   in Loop: Header=BB1_63 Depth=4
	s_and_b64 vcc, exec, s[40:41]
	s_cbranch_vccz .LBB1_73
; %bb.72:                               ;   in Loop: Header=BB1_63 Depth=4
	v_add_u32_e32 v18, s58, v17
	v_mad_u64_u32 v[18:19], s[56:57], v18, s15, v[16:17]
	s_cbranch_execnz .LBB1_62
	s_branch .LBB1_74
.LBB1_73:                               ;   in Loop: Header=BB1_63 Depth=4
                                        ; implicit-def: $vgpr18
.LBB1_74:                               ;   in Loop: Header=BB1_63 Depth=4
	v_add_u32_e32 v18, s58, v23
	s_branch .LBB1_62
.LBB1_75:
	s_or_b64 exec, exec, s[42:43]
	s_and_b64 s[8:9], s[44:45], exec
.LBB1_76:
	s_or_b64 exec, exec, s[38:39]
	v_ashrrev_i32_e32 v5, 31, v4
	v_lshl_add_u64 v[8:9], v[4:5], 2, s[18:19]
	global_load_dword v5, v[8:9], off
	s_waitcnt lgkmcnt(0)
	s_cmp_gt_i32 s15, 0
	s_cselect_b64 s[10:11], -1, 0
	s_waitcnt vmcnt(0)
	v_subrev_u32_e32 v5, s14, v5
	v_cmp_eq_u32_e32 vcc, v5, v2
	s_and_b64 s[0:1], s[10:11], vcc
	s_and_saveexec_b64 s[12:13], s[0:1]
	s_cbranch_execz .LBB1_110
; %bb.77:
	s_cmp_eq_u64 s[24:25], 8
	v_cvt_f64_f32_e32 v[8:9], v25
	s_cselect_b64 vcc, -1, 0
	s_mul_i32 s2, s15, s15
	v_cndmask_b32_e32 v7, v9, v7, vcc
	v_cndmask_b32_e32 v6, v8, v6, vcc
	s_cmp_lg_u32 s34, 0
	v_mul_lo_u32 v5, v4, s15
	v_mad_u64_u32 v[8:9], s[2:3], v4, s2, 1
	s_cselect_b64 s[16:17], -1, 0
	v_add_u32_e32 v9, v5, v0
	v_cndmask_b32_e64 v11, 0, 1, s[36:37]
	s_add_i32 s33, s15, 1
	v_mul_lo_u32 v9, s15, v9
	v_cmp_ne_u32_e64 s[2:3], 1, v11
	v_cndmask_b32_e64 v11, 0, 1, s[16:17]
	v_cmp_eq_u32_e64 s[0:1], 0, v0
	v_add_u32_e32 v9, s33, v9
	s_lshl_b32 s35, s15, 5
	s_add_i32 s46, s15, -1
	v_mov_b32_e32 v10, 0
	s_mov_b64 s[18:19], 0
	v_cmp_ne_u32_e64 s[4:5], 1, v11
	s_mov_b64 s[24:25], s[8:9]
                                        ; implicit-def: $sgpr22_sgpr23
	s_branch .LBB1_79
.LBB1_78:                               ;   in Loop: Header=BB1_79 Depth=1
	s_or_b64 exec, exec, s[6:7]
	s_add_i32 s46, s46, -1
	v_cmp_eq_u32_e32 vcc, s15, v13
	s_or_b64 s[18:19], vcc, s[18:19]
	s_andn2_b64 s[6:7], s[22:23], exec
	s_and_b64 s[22:23], s[24:25], exec
	v_add_u32_e32 v8, s33, v8
	v_add_u32_e32 v9, s33, v9
	s_or_b64 s[22:23], s[6:7], s[22:23]
	v_mov_b32_e32 v10, v13
	s_andn2_b64 exec, exec, s[18:19]
	s_cbranch_execz .LBB1_109
.LBB1_79:                               ; =>This Loop Header: Depth=1
                                        ;     Child Loop BB1_89 Depth 2
                                        ;       Child Loop BB1_98 Depth 3
	v_add_u32_e32 v11, v10, v5
	v_mul_lo_u32 v11, v11, s15
	v_add_u32_e32 v12, v11, v10
	v_ashrrev_i32_e32 v13, 31, v12
	v_lshl_add_u64 v[12:13], v[12:13], 2, s[20:21]
	global_load_dword v18, v[12:13], off
	s_mov_b64 s[36:37], -1
	s_and_b64 vcc, exec, s[2:3]
	s_mov_b64 s[6:7], 0
                                        ; implicit-def: $vgpr14
	s_cbranch_vccnz .LBB1_83
; %bb.80:                               ;   in Loop: Header=BB1_79 Depth=1
	s_waitcnt vmcnt(0)
	v_cmp_gt_f32_e32 vcc, 0, v18
	s_nop 1
	v_cndmask_b32_e64 v14, v18, -v18, vcc
	v_cvt_f64_f32_e32 v[14:15], v14
	v_cmp_ge_f64_e32 vcc, v[6:7], v[14:15]
	s_nop 1
	v_cndmask_b32_e32 v14, v18, v24, vcc
	s_and_saveexec_b64 s[6:7], s[0:1]
	s_cbranch_execz .LBB1_82
; %bb.81:                               ;   in Loop: Header=BB1_79 Depth=1
	global_store_dword v[12:13], v14, off
.LBB1_82:                               ;   in Loop: Header=BB1_79 Depth=1
	s_or_b64 exec, exec, s[6:7]
	s_mov_b64 s[36:37], 0
	s_mov_b64 s[6:7], -1
.LBB1_83:                               ;   in Loop: Header=BB1_79 Depth=1
	s_andn2_b64 vcc, exec, s[36:37]
	s_mov_b64 s[36:37], 0
	s_cbranch_vccnz .LBB1_85
; %bb.84:                               ;   in Loop: Header=BB1_79 Depth=1
	s_waitcnt vmcnt(0)
	v_cmp_neq_f32_e32 vcc, 0, v18
	s_andn2_b64 s[6:7], s[6:7], exec
	s_and_b64 s[38:39], vcc, exec
	s_mov_b64 s[36:37], -1
	s_or_b64 s[6:7], s[6:7], s[38:39]
                                        ; implicit-def: $vgpr13
	s_and_saveexec_b64 s[38:39], s[6:7]
	s_xor_b64 s[38:39], exec, s[38:39]
	s_cbranch_execnz .LBB1_86
	s_branch .LBB1_107
.LBB1_85:                               ;   in Loop: Header=BB1_79 Depth=1
	s_waitcnt vmcnt(0)
	v_mov_b32_e32 v18, v14
                                        ; implicit-def: $vgpr13
	s_and_saveexec_b64 s[38:39], s[6:7]
	s_xor_b64 s[38:39], exec, s[38:39]
	s_cbranch_execz .LBB1_107
.LBB1_86:                               ;   in Loop: Header=BB1_79 Depth=1
	v_add_u32_e32 v13, 1, v10
	v_add_u32_e32 v12, v13, v0
	v_cmp_gt_i32_e32 vcc, s15, v12
	s_and_saveexec_b64 s[40:41], vcc
	s_cbranch_execz .LBB1_106
; %bb.87:                               ;   in Loop: Header=BB1_79 Depth=1
	v_cmp_gt_i32_e64 s[6:7], s15, v13
	s_mov_b64 s[42:43], 0
	v_mov_b32_e32 v19, v9
	s_branch .LBB1_89
.LBB1_88:                               ;   in Loop: Header=BB1_89 Depth=2
	s_or_b64 exec, exec, s[44:45]
	v_add_u32_e32 v12, 32, v12
	v_cmp_le_i32_e32 vcc, s15, v12
	s_or_b64 s[42:43], vcc, s[42:43]
	v_add_u32_e32 v19, s35, v19
	s_andn2_b64 exec, exec, s[42:43]
	s_cbranch_execz .LBB1_106
.LBB1_89:                               ;   Parent Loop BB1_79 Depth=1
                                        ; =>  This Loop Header: Depth=2
                                        ;       Child Loop BB1_98 Depth 3
	s_and_b64 vcc, exec, s[16:17]
	v_add_u32_e32 v14, v12, v11
	s_cbranch_vccz .LBB1_104
; %bb.90:                               ;   in Loop: Header=BB1_89 Depth=2
	v_add_u32_e32 v16, v12, v11
	s_cbranch_execnz .LBB1_92
.LBB1_91:                               ;   in Loop: Header=BB1_89 Depth=2
	v_add_u32_e32 v15, v12, v5
	v_mad_u64_u32 v[16:17], s[44:45], v15, s15, v[10:11]
.LBB1_92:                               ;   in Loop: Header=BB1_89 Depth=2
	v_ashrrev_i32_e32 v17, 31, v16
	v_lshl_add_u64 v[16:17], v[16:17], 2, s[20:21]
	global_load_dword v16, v[16:17], off
	s_and_b64 vcc, exec, s[16:17]
	s_cbranch_vccz .LBB1_105
; %bb.93:                               ;   in Loop: Header=BB1_89 Depth=2
	s_cbranch_execnz .LBB1_95
.LBB1_94:                               ;   in Loop: Header=BB1_89 Depth=2
	v_add_u32_e32 v14, v12, v5
	v_mad_u64_u32 v[14:15], s[44:45], v14, s15, v[10:11]
.LBB1_95:                               ;   in Loop: Header=BB1_89 Depth=2
	s_waitcnt vmcnt(0)
	v_div_scale_f32 v15, s[44:45], v18, v18, v16
	v_rcp_f32_e32 v17, v15
	v_div_scale_f32 v20, vcc, v16, v18, v16
	v_fma_f32 v21, -v15, v17, 1.0
	v_fmac_f32_e32 v17, v21, v17
	v_mul_f32_e32 v21, v20, v17
	v_fma_f32 v22, -v15, v21, v20
	v_fmac_f32_e32 v21, v22, v17
	v_fma_f32 v15, -v15, v21, v20
	v_div_fmas_f32 v15, v15, v17, v21
	v_div_fixup_f32 v16, v15, v18, v16
	v_ashrrev_i32_e32 v15, 31, v14
	v_lshl_add_u64 v[14:15], v[14:15], 2, s[20:21]
	global_store_dword v[14:15], v16, off
	s_and_saveexec_b64 s[44:45], s[6:7]
	s_cbranch_execz .LBB1_88
; %bb.96:                               ;   in Loop: Header=BB1_89 Depth=2
	s_mov_b32 s47, s46
	v_mov_b32_e32 v17, v19
	v_mov_b32_e32 v20, v8
	;; [unrolled: 1-line block ×3, first 2 shown]
	s_branch .LBB1_98
.LBB1_97:                               ;   in Loop: Header=BB1_98 Depth=3
	v_ashrrev_i32_e32 v15, 31, v14
	s_add_i32 s47, s47, -1
	s_waitcnt vmcnt(0)
	v_fma_f32 v22, -v16, v23, v25
	v_lshl_add_u64 v[14:15], v[14:15], 2, s[20:21]
	v_add_u32_e32 v21, 1, v21
	v_add_u32_e32 v20, 1, v20
	s_cmp_eq_u32 s47, 0
	v_add_u32_e32 v17, 1, v17
	global_store_dword v[14:15], v22, off
	s_cbranch_scc1 .LBB1_88
.LBB1_98:                               ;   Parent Loop BB1_79 Depth=1
                                        ;     Parent Loop BB1_89 Depth=2
                                        ; =>    This Inner Loop Header: Depth=3
	s_and_b64 vcc, exec, s[4:5]
	v_add_u32_e32 v22, v21, v5
	v_mov_b32_e32 v14, v20
	s_cbranch_vccnz .LBB1_100
; %bb.99:                               ;   in Loop: Header=BB1_98 Depth=3
	v_mad_u64_u32 v[14:15], s[48:49], v22, s15, v[10:11]
.LBB1_100:                              ;   in Loop: Header=BB1_98 Depth=3
	v_ashrrev_i32_e32 v15, 31, v14
	v_lshl_add_u64 v[14:15], v[14:15], 2, s[20:21]
	global_load_dword v23, v[14:15], off
	s_and_b64 vcc, exec, s[4:5]
	v_mov_b32_e32 v14, v17
	s_cbranch_vccnz .LBB1_102
; %bb.101:                              ;   in Loop: Header=BB1_98 Depth=3
	v_mad_u64_u32 v[14:15], s[48:49], v22, s15, v[12:13]
.LBB1_102:                              ;   in Loop: Header=BB1_98 Depth=3
	v_ashrrev_i32_e32 v15, 31, v14
	v_lshl_add_u64 v[14:15], v[14:15], 2, s[20:21]
	global_load_dword v25, v[14:15], off
	s_and_b64 vcc, exec, s[4:5]
	v_mov_b32_e32 v14, v17
	s_cbranch_vccnz .LBB1_97
; %bb.103:                              ;   in Loop: Header=BB1_98 Depth=3
	v_mad_u64_u32 v[14:15], s[48:49], v22, s15, v[12:13]
	s_branch .LBB1_97
.LBB1_104:                              ;   in Loop: Header=BB1_89 Depth=2
                                        ; implicit-def: $vgpr16
	s_branch .LBB1_91
.LBB1_105:                              ;   in Loop: Header=BB1_89 Depth=2
                                        ; implicit-def: $vgpr14
	s_branch .LBB1_94
.LBB1_106:                              ;   in Loop: Header=BB1_79 Depth=1
	s_or_b64 exec, exec, s[40:41]
	s_andn2_b64 s[36:37], s[36:37], exec
.LBB1_107:                              ;   in Loop: Header=BB1_79 Depth=1
	s_or_b64 exec, exec, s[38:39]
	s_andn2_b64 s[6:7], s[24:25], exec
	s_and_b64 s[24:25], s[24:25], exec
	s_or_b64 s[24:25], s[6:7], s[24:25]
	s_and_saveexec_b64 s[6:7], s[36:37]
	s_cbranch_execz .LBB1_78
; %bb.108:                              ;   in Loop: Header=BB1_79 Depth=1
	v_add_u32_e32 v13, 1, v10
	s_or_b64 s[24:25], s[24:25], exec
	s_branch .LBB1_78
.LBB1_109:
	s_or_b64 exec, exec, s[18:19]
	s_andn2_b64 s[0:1], s[8:9], exec
	s_and_b64 s[2:3], s[22:23], exec
	s_or_b64 s[8:9], s[0:1], s[2:3]
.LBB1_110:
	s_or_b64 exec, exec, s[12:13]
	v_add_u32_e32 v8, 1, v4
	v_cmp_lt_i32_e32 vcc, v8, v1
	s_and_saveexec_b64 s[6:7], vcc
	s_cbranch_execz .LBB1_134
; %bb.111:
	v_mul_lo_u32 v9, v4, s15
	v_mul_lo_u32 v4, s15, v9
	s_mul_i32 s25, s15, s15
	v_add_u32_e32 v10, s15, v4
	v_mul_lo_u32 v4, s25, v8
	s_cmp_lg_u32 s34, 0
	v_add3_u32 v11, v4, s15, v0
	v_cndmask_b32_e64 v4, 0, 1, s[10:11]
	v_cmp_gt_i32_e64 s[0:1], s15, v0
	s_cselect_b64 s[12:13], -1, 0
	s_add_i32 s24, s15, 1
	s_add_i32 s33, s15, -1
	s_mov_b64 s[16:17], 0
	v_cmp_ne_u32_e64 s[2:3], 1, v4
	s_branch .LBB1_113
.LBB1_112:                              ;   in Loop: Header=BB1_113 Depth=1
	v_add_u32_e32 v8, 1, v8
	v_cmp_ge_i32_e32 vcc, v8, v1
	s_or_b64 s[16:17], vcc, s[16:17]
	v_add_u32_e32 v11, s25, v11
	s_andn2_b64 exec, exec, s[16:17]
	s_cbranch_execz .LBB1_134
.LBB1_113:                              ; =>This Loop Header: Depth=1
                                        ;     Child Loop BB1_116 Depth 2
                                        ;       Child Loop BB1_119 Depth 3
                                        ;         Child Loop BB1_122 Depth 4
	s_and_b64 vcc, exec, s[2:3]
	s_cbranch_vccnz .LBB1_112
; %bb.114:                              ;   in Loop: Header=BB1_113 Depth=1
	v_mul_lo_u32 v12, v8, s15
	s_mov_b32 s35, 0
	s_mov_b32 s34, s33
	v_mov_b32_e32 v13, v11
	v_mov_b32_e32 v14, v10
	s_branch .LBB1_116
.LBB1_115:                              ;   in Loop: Header=BB1_116 Depth=2
	s_or_b64 exec, exec, s[10:11]
	s_add_i32 s34, s34, -1
	v_add_u32_e32 v14, s24, v14
	v_add_u32_e32 v13, s15, v13
	s_cmp_eq_u32 s36, s15
	s_mov_b32 s35, s36
	s_cbranch_scc1 .LBB1_112
.LBB1_116:                              ;   Parent Loop BB1_113 Depth=1
                                        ; =>  This Loop Header: Depth=2
                                        ;       Child Loop BB1_119 Depth 3
                                        ;         Child Loop BB1_122 Depth 4
	s_add_i32 s36, s35, 1
	s_and_saveexec_b64 s[10:11], s[0:1]
	s_cbranch_execz .LBB1_115
; %bb.117:                              ;   in Loop: Header=BB1_116 Depth=2
	s_cmp_lt_i32 s36, s15
	v_add_u32_e32 v4, s35, v9
	v_mul_lo_u32 v15, v4, s15
	v_add_u32_e32 v4, s35, v12
	s_cselect_b64 s[4:5], -1, 0
	v_mul_lo_u32 v16, v4, s15
	v_cndmask_b32_e64 v4, 0, 1, s[4:5]
	s_mov_b64 s[18:19], 0
	v_cmp_ne_u32_e64 s[4:5], 1, v4
	v_mov_b32_e32 v17, v13
	v_mov_b32_e32 v18, v0
	s_branch .LBB1_119
.LBB1_118:                              ;   in Loop: Header=BB1_119 Depth=3
	v_add_u32_e32 v18, 32, v18
	v_cmp_le_i32_e32 vcc, s15, v18
	s_or_b64 s[18:19], vcc, s[18:19]
	v_add_u32_e32 v17, 32, v17
	s_andn2_b64 exec, exec, s[18:19]
	s_cbranch_execz .LBB1_115
.LBB1_119:                              ;   Parent Loop BB1_113 Depth=1
                                        ;     Parent Loop BB1_116 Depth=2
                                        ; =>    This Loop Header: Depth=3
                                        ;         Child Loop BB1_122 Depth 4
	s_and_b64 vcc, exec, s[4:5]
	s_cbranch_vccnz .LBB1_118
; %bb.120:                              ;   in Loop: Header=BB1_119 Depth=3
	v_add_u32_e32 v4, v18, v12
	v_mul_lo_u32 v19, v4, s15
	v_add_u32_e32 v20, s35, v19
	v_add_u32_e32 v21, v18, v16
	s_mov_b32 s37, 0
	s_mov_b32 s38, s34
	;; [unrolled: 1-line block ×3, first 2 shown]
	s_branch .LBB1_122
.LBB1_121:                              ;   in Loop: Header=BB1_122 Depth=4
	s_waitcnt vmcnt(0)
	v_fma_f32 v6, -v5, v22, v6
	v_ashrrev_i32_e32 v5, 31, v4
	s_add_i32 s39, s39, 1
	s_add_i32 s37, s37, s15
	s_add_i32 s38, s38, -1
	v_lshl_add_u64 v[4:5], v[4:5], 2, s[20:21]
	s_cmp_eq_u32 s38, 0
	global_store_dword v[4:5], v6, off
	s_cbranch_scc1 .LBB1_118
.LBB1_122:                              ;   Parent Loop BB1_113 Depth=1
                                        ;     Parent Loop BB1_116 Depth=2
                                        ;       Parent Loop BB1_119 Depth=3
                                        ; =>      This Inner Loop Header: Depth=4
	s_and_b64 vcc, exec, s[12:13]
	s_cbranch_vccz .LBB1_130
; %bb.123:                              ;   in Loop: Header=BB1_122 Depth=4
	v_add_u32_e32 v4, s39, v15
	v_mov_b32_e32 v6, v20
	s_cbranch_execnz .LBB1_125
.LBB1_124:                              ;   in Loop: Header=BB1_122 Depth=4
	v_add_u32_e32 v4, s37, v14
	v_mov_b32_e32 v6, v21
.LBB1_125:                              ;   in Loop: Header=BB1_122 Depth=4
	v_ashrrev_i32_e32 v5, 31, v4
	v_lshl_add_u64 v[24:25], v[4:5], 2, s[20:21]
	v_ashrrev_i32_e32 v7, 31, v6
	v_lshl_add_u64 v[6:7], v[6:7], 2, s[20:21]
	global_load_dword v5, v[24:25], off
	global_load_dword v22, v[6:7], off
	s_and_b64 vcc, exec, s[12:13]
	v_add_u32_e32 v4, s39, v19
	s_cbranch_vccz .LBB1_131
; %bb.126:                              ;   in Loop: Header=BB1_122 Depth=4
	v_add_u32_e32 v6, s39, v19
	v_add_u32_e32 v23, s37, v17
	s_cbranch_execnz .LBB1_128
.LBB1_127:                              ;   in Loop: Header=BB1_122 Depth=4
	v_add_u32_e32 v6, s37, v17
.LBB1_128:                              ;   in Loop: Header=BB1_122 Depth=4
	v_ashrrev_i32_e32 v7, 31, v6
	v_lshl_add_u64 v[6:7], v[6:7], 2, s[20:21]
	global_load_dword v6, v[6:7], off
	s_and_b64 vcc, exec, s[12:13]
	s_cbranch_vccz .LBB1_132
; %bb.129:                              ;   in Loop: Header=BB1_122 Depth=4
	s_cbranch_execnz .LBB1_121
	s_branch .LBB1_133
.LBB1_130:                              ;   in Loop: Header=BB1_122 Depth=4
                                        ; implicit-def: $vgpr4
	v_mov_b32_e32 v6, v20
	s_branch .LBB1_124
.LBB1_131:                              ;   in Loop: Header=BB1_122 Depth=4
                                        ; implicit-def: $vgpr6
	v_add_u32_e32 v23, s37, v17
	s_branch .LBB1_127
.LBB1_132:                              ;   in Loop: Header=BB1_122 Depth=4
                                        ; implicit-def: $vgpr4
.LBB1_133:                              ;   in Loop: Header=BB1_122 Depth=4
	v_mov_b32_e32 v4, v23
	s_branch .LBB1_121
.LBB1_134:
	s_or_b64 exec, exec, s[6:7]
	s_orn2_b64 s[2:3], s[8:9], exec
.LBB1_135:
	s_or_b64 exec, exec, s[30:31]
	v_cmp_eq_u32_e32 vcc, 0, v0
	s_and_b64 exec, exec, vcc
	s_cbranch_execz .LBB1_141
; %bb.136:
	v_lshl_add_u64 v[0:1], v[2:3], 2, s[28:29]
	v_mov_b32_e32 v3, 1
	buffer_wbl2 sc1
	s_waitcnt vmcnt(0)
	global_store_dword v[0:1], v3, off sc1
	s_and_b64 exec, exec, s[2:3]
	s_cbranch_execz .LBB1_141
; %bb.137:
	s_mov_b64 s[0:1], exec
	v_add_u32_e32 v0, s14, v2
	s_brev_b32 s2, -2
.LBB1_138:                              ; =>This Inner Loop Header: Depth=1
	s_ff1_i32_b64 s3, s[0:1]
	v_readlane_b32 s6, v0, s3
	s_lshl_b64 s[4:5], 1, s3
	s_min_i32 s2, s2, s6
	s_andn2_b64 s[0:1], s[0:1], s[4:5]
	s_cmp_lg_u64 s[0:1], 0
	s_cbranch_scc1 .LBB1_138
; %bb.139:
	v_mbcnt_lo_u32_b32 v0, exec_lo, 0
	v_mbcnt_hi_u32_b32 v0, exec_hi, v0
	v_cmp_eq_u32_e32 vcc, 0, v0
	s_and_saveexec_b64 s[0:1], vcc
	s_xor_b64 s[0:1], exec, s[0:1]
	s_cbranch_execz .LBB1_141
; %bb.140:
	v_mov_b32_e32 v0, 0
	v_mov_b32_e32 v1, s2
	global_atomic_smin v0, v1, s[26:27]
.LBB1_141:
	s_endpgm
	.section	.rodata,"a",@progbits
	.p2align	6, 0x0
	.amdhsa_kernel _ZN9rocsparseL15bsrilu0_generalILj128ELj32ELb0EfEEv20rocsparse_direction_iPKiS3_PT2_S3_iPiS3_S6_21rocsparse_index_base_imNS_24const_host_device_scalarIfEENS8_IdEENS8_IS4_EEb
		.amdhsa_group_segment_fixed_size 0
		.amdhsa_private_segment_fixed_size 0
		.amdhsa_kernarg_size 116
		.amdhsa_user_sgpr_count 2
		.amdhsa_user_sgpr_dispatch_ptr 0
		.amdhsa_user_sgpr_queue_ptr 0
		.amdhsa_user_sgpr_kernarg_segment_ptr 1
		.amdhsa_user_sgpr_dispatch_id 0
		.amdhsa_user_sgpr_kernarg_preload_length 0
		.amdhsa_user_sgpr_kernarg_preload_offset 0
		.amdhsa_user_sgpr_private_segment_size 0
		.amdhsa_uses_dynamic_stack 0
		.amdhsa_enable_private_segment 0
		.amdhsa_system_sgpr_workgroup_id_x 1
		.amdhsa_system_sgpr_workgroup_id_y 0
		.amdhsa_system_sgpr_workgroup_id_z 0
		.amdhsa_system_sgpr_workgroup_info 0
		.amdhsa_system_vgpr_workitem_id 0
		.amdhsa_next_free_vgpr 37
		.amdhsa_next_free_sgpr 68
		.amdhsa_accum_offset 40
		.amdhsa_reserve_vcc 1
		.amdhsa_float_round_mode_32 0
		.amdhsa_float_round_mode_16_64 0
		.amdhsa_float_denorm_mode_32 3
		.amdhsa_float_denorm_mode_16_64 3
		.amdhsa_dx10_clamp 1
		.amdhsa_ieee_mode 1
		.amdhsa_fp16_overflow 0
		.amdhsa_tg_split 0
		.amdhsa_exception_fp_ieee_invalid_op 0
		.amdhsa_exception_fp_denorm_src 0
		.amdhsa_exception_fp_ieee_div_zero 0
		.amdhsa_exception_fp_ieee_overflow 0
		.amdhsa_exception_fp_ieee_underflow 0
		.amdhsa_exception_fp_ieee_inexact 0
		.amdhsa_exception_int_div_zero 0
	.end_amdhsa_kernel
	.section	.text._ZN9rocsparseL15bsrilu0_generalILj128ELj32ELb0EfEEv20rocsparse_direction_iPKiS3_PT2_S3_iPiS3_S6_21rocsparse_index_base_imNS_24const_host_device_scalarIfEENS8_IdEENS8_IS4_EEb,"axG",@progbits,_ZN9rocsparseL15bsrilu0_generalILj128ELj32ELb0EfEEv20rocsparse_direction_iPKiS3_PT2_S3_iPiS3_S6_21rocsparse_index_base_imNS_24const_host_device_scalarIfEENS8_IdEENS8_IS4_EEb,comdat
.Lfunc_end1:
	.size	_ZN9rocsparseL15bsrilu0_generalILj128ELj32ELb0EfEEv20rocsparse_direction_iPKiS3_PT2_S3_iPiS3_S6_21rocsparse_index_base_imNS_24const_host_device_scalarIfEENS8_IdEENS8_IS4_EEb, .Lfunc_end1-_ZN9rocsparseL15bsrilu0_generalILj128ELj32ELb0EfEEv20rocsparse_direction_iPKiS3_PT2_S3_iPiS3_S6_21rocsparse_index_base_imNS_24const_host_device_scalarIfEENS8_IdEENS8_IS4_EEb
                                        ; -- End function
	.set _ZN9rocsparseL15bsrilu0_generalILj128ELj32ELb0EfEEv20rocsparse_direction_iPKiS3_PT2_S3_iPiS3_S6_21rocsparse_index_base_imNS_24const_host_device_scalarIfEENS8_IdEENS8_IS4_EEb.num_vgpr, 37
	.set _ZN9rocsparseL15bsrilu0_generalILj128ELj32ELb0EfEEv20rocsparse_direction_iPKiS3_PT2_S3_iPiS3_S6_21rocsparse_index_base_imNS_24const_host_device_scalarIfEENS8_IdEENS8_IS4_EEb.num_agpr, 0
	.set _ZN9rocsparseL15bsrilu0_generalILj128ELj32ELb0EfEEv20rocsparse_direction_iPKiS3_PT2_S3_iPiS3_S6_21rocsparse_index_base_imNS_24const_host_device_scalarIfEENS8_IdEENS8_IS4_EEb.numbered_sgpr, 68
	.set _ZN9rocsparseL15bsrilu0_generalILj128ELj32ELb0EfEEv20rocsparse_direction_iPKiS3_PT2_S3_iPiS3_S6_21rocsparse_index_base_imNS_24const_host_device_scalarIfEENS8_IdEENS8_IS4_EEb.num_named_barrier, 0
	.set _ZN9rocsparseL15bsrilu0_generalILj128ELj32ELb0EfEEv20rocsparse_direction_iPKiS3_PT2_S3_iPiS3_S6_21rocsparse_index_base_imNS_24const_host_device_scalarIfEENS8_IdEENS8_IS4_EEb.private_seg_size, 0
	.set _ZN9rocsparseL15bsrilu0_generalILj128ELj32ELb0EfEEv20rocsparse_direction_iPKiS3_PT2_S3_iPiS3_S6_21rocsparse_index_base_imNS_24const_host_device_scalarIfEENS8_IdEENS8_IS4_EEb.uses_vcc, 1
	.set _ZN9rocsparseL15bsrilu0_generalILj128ELj32ELb0EfEEv20rocsparse_direction_iPKiS3_PT2_S3_iPiS3_S6_21rocsparse_index_base_imNS_24const_host_device_scalarIfEENS8_IdEENS8_IS4_EEb.uses_flat_scratch, 0
	.set _ZN9rocsparseL15bsrilu0_generalILj128ELj32ELb0EfEEv20rocsparse_direction_iPKiS3_PT2_S3_iPiS3_S6_21rocsparse_index_base_imNS_24const_host_device_scalarIfEENS8_IdEENS8_IS4_EEb.has_dyn_sized_stack, 0
	.set _ZN9rocsparseL15bsrilu0_generalILj128ELj32ELb0EfEEv20rocsparse_direction_iPKiS3_PT2_S3_iPiS3_S6_21rocsparse_index_base_imNS_24const_host_device_scalarIfEENS8_IdEENS8_IS4_EEb.has_recursion, 0
	.set _ZN9rocsparseL15bsrilu0_generalILj128ELj32ELb0EfEEv20rocsparse_direction_iPKiS3_PT2_S3_iPiS3_S6_21rocsparse_index_base_imNS_24const_host_device_scalarIfEENS8_IdEENS8_IS4_EEb.has_indirect_call, 0
	.section	.AMDGPU.csdata,"",@progbits
; Kernel info:
; codeLenInByte = 3628
; TotalNumSgprs: 74
; NumVgprs: 37
; NumAgprs: 0
; TotalNumVgprs: 37
; ScratchSize: 0
; MemoryBound: 0
; FloatMode: 240
; IeeeMode: 1
; LDSByteSize: 0 bytes/workgroup (compile time only)
; SGPRBlocks: 9
; VGPRBlocks: 4
; NumSGPRsForWavesPerEU: 74
; NumVGPRsForWavesPerEU: 37
; AccumOffset: 40
; Occupancy: 8
; WaveLimiterHint : 1
; COMPUTE_PGM_RSRC2:SCRATCH_EN: 0
; COMPUTE_PGM_RSRC2:USER_SGPR: 2
; COMPUTE_PGM_RSRC2:TRAP_HANDLER: 0
; COMPUTE_PGM_RSRC2:TGID_X_EN: 1
; COMPUTE_PGM_RSRC2:TGID_Y_EN: 0
; COMPUTE_PGM_RSRC2:TGID_Z_EN: 0
; COMPUTE_PGM_RSRC2:TIDIG_COMP_CNT: 0
; COMPUTE_PGM_RSRC3_GFX90A:ACCUM_OFFSET: 9
; COMPUTE_PGM_RSRC3_GFX90A:TG_SPLIT: 0
	.section	.text._ZN9rocsparseL11bsrilu0_2_8ILj64ELj64ELj8EfEEv20rocsparse_direction_iPKiS3_PT2_S3_iPiS3_S6_21rocsparse_index_base_imNS_24const_host_device_scalarIfEENS8_IdEENS8_IS4_EEb,"axG",@progbits,_ZN9rocsparseL11bsrilu0_2_8ILj64ELj64ELj8EfEEv20rocsparse_direction_iPKiS3_PT2_S3_iPiS3_S6_21rocsparse_index_base_imNS_24const_host_device_scalarIfEENS8_IdEENS8_IS4_EEb,comdat
	.globl	_ZN9rocsparseL11bsrilu0_2_8ILj64ELj64ELj8EfEEv20rocsparse_direction_iPKiS3_PT2_S3_iPiS3_S6_21rocsparse_index_base_imNS_24const_host_device_scalarIfEENS8_IdEENS8_IS4_EEb ; -- Begin function _ZN9rocsparseL11bsrilu0_2_8ILj64ELj64ELj8EfEEv20rocsparse_direction_iPKiS3_PT2_S3_iPiS3_S6_21rocsparse_index_base_imNS_24const_host_device_scalarIfEENS8_IdEENS8_IS4_EEb
	.p2align	8
	.type	_ZN9rocsparseL11bsrilu0_2_8ILj64ELj64ELj8EfEEv20rocsparse_direction_iPKiS3_PT2_S3_iPiS3_S6_21rocsparse_index_base_imNS_24const_host_device_scalarIfEENS8_IdEENS8_IS4_EEb,@function
_ZN9rocsparseL11bsrilu0_2_8ILj64ELj64ELj8EfEEv20rocsparse_direction_iPKiS3_PT2_S3_iPiS3_S6_21rocsparse_index_base_imNS_24const_host_device_scalarIfEENS8_IdEENS8_IS4_EEb: ; @_ZN9rocsparseL11bsrilu0_2_8ILj64ELj64ELj8EfEEv20rocsparse_direction_iPKiS3_PT2_S3_iPiS3_S6_21rocsparse_index_base_imNS_24const_host_device_scalarIfEENS8_IdEENS8_IS4_EEb
; %bb.0:
	s_load_dword s3, s[0:1], 0x70
	s_load_dwordx2 s[14:15], s[0:1], 0x48
	s_load_dwordx8 s[24:31], s[0:1], 0x50
	s_waitcnt lgkmcnt(0)
	s_bitcmp1_b32 s3, 0
	s_cselect_b64 s[4:5], -1, 0
	s_cmp_eq_u32 s15, 0
	s_cselect_b64 s[6:7], -1, 0
	s_cmp_lg_u32 s15, 0
	s_cselect_b64 s[42:43], -1, 0
	s_or_b64 s[4:5], s[6:7], s[4:5]
	s_xor_b64 s[8:9], s[4:5], -1
	s_and_b64 s[10:11], s[6:7], exec
	s_cselect_b32 s11, 0, s29
	s_cselect_b32 s10, 0, s28
	s_and_b64 vcc, exec, s[4:5]
	s_cbranch_vccnz .LBB2_2
; %bb.1:
	s_load_dword s3, s[26:27], 0x0
	s_mov_b64 s[10:11], s[28:29]
	s_waitcnt lgkmcnt(0)
	v_mov_b32_e32 v15, s3
	s_branch .LBB2_3
.LBB2_2:
	v_mov_b32_e32 v1, s26
	v_cndmask_b32_e64 v15, v1, 0, s[6:7]
.LBB2_3:
	v_cndmask_b32_e64 v1, 0, 1, s[8:9]
	v_cmp_ne_u32_e64 s[4:5], 1, v1
	s_andn2_b64 vcc, exec, s[8:9]
	v_mov_b64_e32 v[2:3], s[10:11]
	s_cbranch_vccnz .LBB2_5
; %bb.4:
	v_mov_b64_e32 v[2:3], s[28:29]
	flat_load_dwordx2 v[2:3], v[2:3]
.LBB2_5:
	s_and_b64 vcc, exec, s[4:5]
	s_mov_b32 s3, 0
	s_cbranch_vccnz .LBB2_7
; %bb.6:
	s_load_dword s4, s[30:31], 0x0
	s_waitcnt lgkmcnt(0)
	v_mov_b32_e32 v7, s4
	s_branch .LBB2_8
.LBB2_7:
	v_mov_b32_e32 v1, s30
	v_cndmask_b32_e64 v7, v1, 0, s[6:7]
.LBB2_8:
	s_load_dwordx4 s[28:31], s[0:1], 0x30
	s_load_dwordx2 s[26:27], s[0:1], 0x40
	s_lshl_b64 s[2:3], s[2:3], 2
	s_waitcnt lgkmcnt(0)
	s_add_u32 s2, s30, s2
	s_addc_u32 s3, s31, s3
	s_load_dword s30, s[2:3], 0x0
	s_load_dwordx8 s[16:23], s[0:1], 0x8
	s_waitcnt lgkmcnt(0)
	s_ashr_i32 s31, s30, 31
	s_lshl_b64 s[34:35], s[30:31], 2
	s_add_u32 s2, s22, s34
	s_addc_u32 s3, s23, s35
	s_load_dword s38, s[2:3], 0x0
	s_waitcnt lgkmcnt(0)
	s_cmp_eq_u32 s38, -1
	s_cbranch_scc1 .LBB2_82
; %bb.9:
	s_add_u32 s2, s16, s34
	s_addc_u32 s3, s17, s35
	s_load_dwordx2 s[4:5], s[2:3], 0x0
	s_load_dwordx2 s[40:41], s[0:1], 0x0
	s_load_dword s15, s[0:1], 0x28
	v_bfe_u32 v1, v0, 10, 10
	s_mov_b64 s[36:37], 0
	s_waitcnt lgkmcnt(0)
	s_sub_i32 s44, s4, s14
	s_sub_i32 s31, s5, s14
	s_cmp_ge_i32 s44, s38
	v_mul_u32_u24_e32 v14, 36, v1
	v_add_u32_e32 v5, 1, v1
	s_cbranch_scc1 .LBB2_60
; %bb.10:
	s_cmp_eq_u32 s40, 0
	s_cselect_b64 vcc, -1, 0
	s_cmp_gt_i32 s15, 0
	s_cselect_b64 s[4:5], -1, 0
	s_add_u32 s0, s0, 0x78
	v_and_b32_e32 v6, 0x3ff, v0
	s_addc_u32 s1, s1, 0
	s_add_i32 s33, s41, 1
	v_max_u32_e32 v8, v6, v1
	s_cmp_lg_u32 s15, 1
	v_lshlrev_b32_e32 v4, 2, v6
	v_cmp_gt_u32_e64 s[12:13], s15, v8
	s_cselect_b64 s[6:7], -1, 0
	s_and_b32 s39, s15, 0x7ffffffe
	v_cndmask_b32_e64 v8, 0, 1, s[4:5]
	v_add_u32_e32 v16, 0x120, v4
	v_mad_u32_u24 v18, v1, 36, v4
	s_bitcmp1_b32 s15, 0
	v_cndmask_b32_e64 v9, 0, 1, s[6:7]
	v_cmp_ne_u32_e64 s[4:5], 1, v8
	v_mbcnt_lo_u32_b32 v8, -1, 0
	v_mad_u32_u24 v17, v1, 36, v16
	v_cmp_eq_u32_e64 s[2:3], 0, v1
	v_add_u32_e32 v19, s44, v6
	v_cndmask_b32_e32 v4, v1, v6, vcc
	v_cndmask_b32_e32 v6, v6, v1, vcc
	v_add_u32_e32 v20, 1, v1
	v_mad_u32_u24 v21, v1, 36, 36
	v_add_u32_e32 v22, 0x144, v18
	v_mov_b32_e32 v23, 0
	s_cselect_b64 s[46:47], -1, 0
	v_cmp_ne_u32_e64 s[6:7], 1, v9
	v_mbcnt_hi_u32_b32 v24, -1, v8
	s_branch .LBB2_13
.LBB2_11:                               ;   in Loop: Header=BB2_13 Depth=1
	s_mov_b64 s[36:37], -1
.LBB2_12:                               ;   in Loop: Header=BB2_13 Depth=1
	s_add_i32 s44, s44, 1
	s_cmp_lt_i32 s44, s38
	s_cselect_b64 s[10:11], -1, 0
	s_and_b64 s[8:9], s[8:9], s[10:11]
	s_and_b64 vcc, exec, s[8:9]
	s_cbranch_vccz .LBB2_60
.LBB2_13:                               ; =>This Loop Header: Depth=1
                                        ;     Child Loop BB2_17 Depth 2
                                        ;     Child Loop BB2_24 Depth 2
	;; [unrolled: 1-line block ×3, first 2 shown]
                                        ;       Child Loop BB2_49 Depth 3
                                        ;       Child Loop BB2_57 Depth 3
	s_ashr_i32 s45, s44, 31
	s_lshl_b64 s[8:9], s[44:45], 2
	s_add_u32 s8, s18, s8
	s_addc_u32 s9, s19, s9
	global_load_dword v8, v23, s[8:9]
	s_waitcnt vmcnt(0)
	v_readfirstlane_b32 s10, v8
	v_mov_b32_e32 v8, 0
	s_and_saveexec_b64 s[8:9], s[12:13]
	s_cbranch_execz .LBB2_15
; %bb.14:                               ;   in Loop: Header=BB2_13 Depth=1
	s_mul_i32 s11, s44, s15
	v_add_u32_e32 v8, s11, v4
	v_mad_u64_u32 v[8:9], s[48:49], v8, s15, v[6:7]
	v_mov_b32_e32 v9, v23
	v_lshl_add_u64 v[8:9], v[8:9], 2, s[20:21]
	global_load_dword v8, v[8:9], off
.LBB2_15:                               ;   in Loop: Header=BB2_13 Depth=1
	s_or_b64 exec, exec, s[8:9]
	s_sub_i32 s8, s10, s14
	s_ashr_i32 s9, s8, 31
	s_lshl_b64 s[10:11], s[8:9], 2
	s_add_u32 s8, s22, s10
	s_addc_u32 s9, s23, s11
	global_load_dword v9, v23, s[8:9]
	s_waitcnt vmcnt(1)
	ds_write_b32 v17, v8
	s_waitcnt vmcnt(0)
	v_cmp_eq_u32_e32 vcc, -1, v9
	v_readfirstlane_b32 s41, v9
	v_cmp_ne_u32_e64 s[8:9], -1, v9
	s_cbranch_vccnz .LBB2_11
; %bb.16:                               ;   in Loop: Header=BB2_13 Depth=1
	s_add_u32 s48, s16, s10
	s_addc_u32 s49, s17, s11
	global_load_dword v8, v23, s[48:49] offset:4
	s_add_u32 s10, s28, s10
	s_addc_u32 s11, s29, s11
	s_waitcnt vmcnt(0)
	v_readfirstlane_b32 s45, v8
.LBB2_17:                               ;   Parent Loop BB2_13 Depth=1
                                        ; =>  This Inner Loop Header: Depth=2
	global_load_dword v8, v23, s[10:11] sc1
	s_waitcnt vmcnt(0)
	v_cmp_eq_u32_e32 vcc, 0, v8
	s_cbranch_vccnz .LBB2_17
; %bb.18:                               ;   in Loop: Header=BB2_13 Depth=1
	v_mov_b32_e32 v8, 0
	s_waitcnt lgkmcnt(0)
	buffer_inv sc1
	s_and_saveexec_b64 s[10:11], s[12:13]
	s_cbranch_execz .LBB2_20
; %bb.19:                               ;   in Loop: Header=BB2_13 Depth=1
	s_mul_i32 s48, s41, s15
	v_add_u32_e32 v8, s48, v4
	v_mad_u64_u32 v[8:9], s[48:49], v8, s15, v[6:7]
	v_mov_b32_e32 v9, v23
	v_lshl_add_u64 v[8:9], v[8:9], 2, s[20:21]
	global_load_dword v8, v[8:9], off
.LBB2_20:                               ;   in Loop: Header=BB2_13 Depth=1
	s_or_b64 exec, exec, s[10:11]
	s_and_b64 vcc, exec, s[4:5]
	s_waitcnt vmcnt(0)
	ds_write_b32 v18, v8
	s_waitcnt lgkmcnt(0)
	s_cbranch_vccnz .LBB2_38
; %bb.21:                               ;   in Loop: Header=BB2_13 Depth=1
	s_and_b64 vcc, exec, s[6:7]
	s_mov_b32 s50, 0
	s_cbranch_vccnz .LBB2_32
; %bb.22:                               ;   in Loop: Header=BB2_13 Depth=1
	s_mov_b32 s48, 0
	v_mov_b32_e32 v8, v16
	v_mov_b32_e32 v9, v22
	;; [unrolled: 1-line block ×3, first 2 shown]
	s_mov_b32 s49, 0
	s_branch .LBB2_24
.LBB2_23:                               ;   in Loop: Header=BB2_24 Depth=2
	s_or_b64 exec, exec, s[10:11]
	s_add_i32 s49, s49, 2
	s_addk_i32 s48, 0x50
	v_add_u32_e32 v10, 0x50, v10
	v_add_u32_e32 v9, 0x48, v9
	;; [unrolled: 1-line block ×3, first 2 shown]
	s_cmp_eq_u32 s39, s49
	s_mov_b32 s50, s39
	s_waitcnt lgkmcnt(0)
	s_cbranch_scc1 .LBB2_32
.LBB2_24:                               ;   Parent Loop BB2_13 Depth=1
                                        ; =>  This Inner Loop Header: Depth=2
	v_mov_b32_e32 v11, s48
	ds_read_b32 v11, v11
	ds_read_b32 v12, v8
	s_waitcnt lgkmcnt(0)
	v_div_scale_f32 v13, s[10:11], v11, v11, v12
	v_rcp_f32_e32 v25, v13
	v_div_scale_f32 v26, vcc, v12, v11, v12
	v_fma_f32 v27, -v13, v25, 1.0
	v_fmac_f32_e32 v25, v27, v25
	v_mul_f32_e32 v27, v26, v25
	v_fma_f32 v28, -v13, v27, v26
	v_fmac_f32_e32 v27, v28, v25
	v_fma_f32 v13, -v13, v27, v26
	v_div_fmas_f32 v13, v13, v25, v27
	v_div_fixup_f32 v12, v13, v11, v12
	s_and_saveexec_b64 s[10:11], s[2:3]
; %bb.25:                               ;   in Loop: Header=BB2_24 Depth=2
	ds_write_b32 v8, v12
; %bb.26:                               ;   in Loop: Header=BB2_24 Depth=2
	s_or_b64 exec, exec, s[10:11]
	v_add_u32_e32 v11, s49, v1
	v_add_u32_e32 v13, 1, v11
	v_cmp_gt_i32_e32 vcc, s15, v13
	s_and_saveexec_b64 s[10:11], vcc
	s_cbranch_execz .LBB2_28
; %bb.27:                               ;   in Loop: Header=BB2_24 Depth=2
	ds_read_b32 v13, v10
	ds_read_b32 v25, v9
	s_waitcnt lgkmcnt(0)
	v_fma_f32 v12, -v12, v13, v25
	ds_write_b32 v9, v12
.LBB2_28:                               ;   in Loop: Header=BB2_24 Depth=2
	s_or_b64 exec, exec, s[10:11]
	v_mov_b32_e32 v12, s48
	s_waitcnt lgkmcnt(0)
	ds_read_b32 v12, v12 offset:40
	ds_read_b32 v13, v8 offset:36
	s_waitcnt lgkmcnt(0)
	v_div_scale_f32 v25, s[10:11], v12, v12, v13
	v_rcp_f32_e32 v26, v25
	v_div_scale_f32 v27, vcc, v13, v12, v13
	v_fma_f32 v28, -v25, v26, 1.0
	v_fmac_f32_e32 v26, v28, v26
	v_mul_f32_e32 v28, v27, v26
	v_fma_f32 v29, -v25, v28, v27
	v_fmac_f32_e32 v28, v29, v26
	v_fma_f32 v25, -v25, v28, v27
	v_div_fmas_f32 v25, v25, v26, v28
	v_div_fixup_f32 v12, v25, v12, v13
	s_and_saveexec_b64 s[10:11], s[2:3]
; %bb.29:                               ;   in Loop: Header=BB2_24 Depth=2
	ds_write_b32 v8, v12 offset:36
; %bb.30:                               ;   in Loop: Header=BB2_24 Depth=2
	s_or_b64 exec, exec, s[10:11]
	v_add_u32_e32 v11, 2, v11
	v_cmp_gt_i32_e32 vcc, s15, v11
	s_and_saveexec_b64 s[10:11], vcc
	s_cbranch_execz .LBB2_23
; %bb.31:                               ;   in Loop: Header=BB2_24 Depth=2
	ds_read_b32 v11, v10 offset:40
	ds_read_b32 v13, v9 offset:36
	s_waitcnt lgkmcnt(0)
	v_fma_f32 v11, -v12, v11, v13
	ds_write_b32 v9, v11 offset:36
	s_branch .LBB2_23
.LBB2_32:                               ;   in Loop: Header=BB2_13 Depth=1
	s_andn2_b64 vcc, exec, s[46:47]
	s_cbranch_vccnz .LBB2_38
; %bb.33:                               ;   in Loop: Header=BB2_13 Depth=1
	s_mul_i32 s10, s50, 36
	s_lshl_b32 s11, s50, 2
	s_add_i32 s48, s10, s11
	v_mov_b32_e32 v9, s48
	v_add_u32_e32 v8, s10, v16
	ds_read_b32 v9, v9
	ds_read_b32 v10, v8
	s_waitcnt lgkmcnt(0)
	v_div_scale_f32 v11, s[10:11], v9, v9, v10
	v_rcp_f32_e32 v12, v11
	v_div_scale_f32 v13, vcc, v10, v9, v10
	v_fma_f32 v25, -v11, v12, 1.0
	v_fmac_f32_e32 v12, v25, v12
	v_mul_f32_e32 v25, v13, v12
	v_fma_f32 v26, -v11, v25, v13
	v_fmac_f32_e32 v25, v26, v12
	v_fma_f32 v11, -v11, v25, v13
	v_div_fmas_f32 v11, v11, v12, v25
	v_div_fixup_f32 v9, v11, v9, v10
	s_and_saveexec_b64 s[10:11], s[2:3]
; %bb.34:                               ;   in Loop: Header=BB2_13 Depth=1
	ds_write_b32 v8, v9
; %bb.35:                               ;   in Loop: Header=BB2_13 Depth=1
	s_or_b64 exec, exec, s[10:11]
	v_add_u32_e32 v10, s50, v20
	v_cmp_gt_i32_e32 vcc, s15, v10
	s_and_saveexec_b64 s[10:11], vcc
	s_cbranch_execz .LBB2_37
; %bb.36:                               ;   in Loop: Header=BB2_13 Depth=1
	v_mad_u32_u24 v10, v1, 36, s48
	v_mad_u32_u24 v8, v1, 36, v8
	ds_read_b32 v10, v10 offset:36
	ds_read_b32 v11, v8 offset:36
	s_waitcnt lgkmcnt(0)
	v_fma_f32 v9, -v9, v10, v11
	ds_write_b32 v8, v9 offset:36
.LBB2_37:                               ;   in Loop: Header=BB2_13 Depth=1
	s_or_b64 exec, exec, s[10:11]
	s_waitcnt lgkmcnt(0)
.LBB2_38:                               ;   in Loop: Header=BB2_13 Depth=1
	s_and_saveexec_b64 s[10:11], s[12:13]
	s_cbranch_execz .LBB2_40
; %bb.39:                               ;   in Loop: Header=BB2_13 Depth=1
	ds_read_b32 v10, v17
	s_mul_i32 s48, s44, s15
	v_add_u32_e32 v8, s48, v4
	v_mad_u64_u32 v[8:9], s[48:49], v8, s15, v[6:7]
	v_mov_b32_e32 v9, v23
	v_lshl_add_u64 v[8:9], v[8:9], 2, s[20:21]
	s_waitcnt lgkmcnt(0)
	global_store_dword v[8:9], v10, off
.LBB2_40:                               ;   in Loop: Header=BB2_13 Depth=1
	s_or_b64 exec, exec, s[10:11]
	s_sub_i32 s45, s45, s14
	s_add_i32 s48, s41, 1
	s_cmp_ge_i32 s48, s45
	s_cbranch_scc1 .LBB2_12
; %bb.41:                               ;   in Loop: Header=BB2_13 Depth=1
	s_load_dword s10, s[0:1], 0xc
	s_waitcnt lgkmcnt(0)
	s_and_b32 s10, s10, 0xffff
	v_mad_u32_u24 v8, v1, s10, v19
	v_ashrrev_i32_e32 v9, 31, v8
	v_cmp_gt_i32_e64 s[10:11], s31, v8
	v_lshl_add_u64 v[10:11], v[8:9], 2, s[18:19]
	s_branch .LBB2_44
.LBB2_42:                               ;   in Loop: Header=BB2_44 Depth=2
	s_or_b64 exec, exec, s[50:51]
.LBB2_43:                               ;   in Loop: Header=BB2_44 Depth=2
	s_add_i32 s48, s48, 1
	s_cmp_lt_i32 s48, s45
	s_cbranch_scc0 .LBB2_12
.LBB2_44:                               ;   Parent Loop BB2_13 Depth=1
                                        ; =>  This Loop Header: Depth=2
                                        ;       Child Loop BB2_49 Depth 3
                                        ;       Child Loop BB2_57 Depth 3
	s_ashr_i32 s49, s48, 31
	s_lshl_b64 s[50:51], s[48:49], 2
	s_add_u32 s50, s18, s50
	s_addc_u32 s51, s19, s51
	global_load_dword v9, v23, s[50:51]
	v_mov_b32_e32 v13, s33
	s_and_saveexec_b64 s[50:51], s[10:11]
	s_cbranch_execz .LBB2_46
; %bb.45:                               ;   in Loop: Header=BB2_44 Depth=2
	global_load_dword v12, v[10:11], off
	s_waitcnt vmcnt(0)
	v_subrev_u32_e32 v13, s14, v12
.LBB2_46:                               ;   in Loop: Header=BB2_44 Depth=2
	s_or_b64 exec, exec, s[50:51]
	s_waitcnt vmcnt(0)
	v_subrev_u32_e32 v9, s14, v9
	v_cmp_lt_i32_e32 vcc, v13, v9
	v_mov_b32_e32 v25, v8
	s_and_saveexec_b64 s[50:51], vcc
	s_cbranch_execz .LBB2_52
; %bb.47:                               ;   in Loop: Header=BB2_44 Depth=2
	s_mov_b64 s[52:53], 0
	v_mov_b32_e32 v12, v8
	s_branch .LBB2_49
.LBB2_48:                               ;   in Loop: Header=BB2_49 Depth=3
	s_or_b64 exec, exec, s[54:55]
	v_cmp_ge_i32_e32 vcc, v13, v9
	s_or_b64 s[52:53], vcc, s[52:53]
	v_mov_b32_e32 v12, v25
	s_andn2_b64 exec, exec, s[52:53]
	s_cbranch_execz .LBB2_51
.LBB2_49:                               ;   Parent Loop BB2_13 Depth=1
                                        ;     Parent Loop BB2_44 Depth=2
                                        ; =>    This Inner Loop Header: Depth=3
	v_add_u32_e32 v25, 64, v12
	v_cmp_gt_i32_e32 vcc, s31, v25
	v_mov_b32_e32 v13, s33
	s_and_saveexec_b64 s[54:55], vcc
	s_cbranch_execz .LBB2_48
; %bb.50:                               ;   in Loop: Header=BB2_49 Depth=3
	v_ashrrev_i32_e32 v13, 31, v12
	v_lshl_add_u64 v[12:13], v[12:13], 2, s[18:19]
	global_load_dword v12, v[12:13], off offset:256
	s_waitcnt vmcnt(0)
	v_subrev_u32_e32 v13, s14, v12
	s_branch .LBB2_48
.LBB2_51:                               ;   in Loop: Header=BB2_44 Depth=2
	s_or_b64 exec, exec, s[52:53]
.LBB2_52:                               ;   in Loop: Header=BB2_44 Depth=2
	s_or_b64 exec, exec, s[50:51]
	v_cmp_eq_u32_e32 vcc, v13, v9
	s_cbranch_vccz .LBB2_43
; %bb.53:                               ;   in Loop: Header=BB2_44 Depth=2
	s_ff1_i32_b64 s41, vcc
	v_and_or_b32 v9, v24, 64, s41
	v_lshlrev_b32_e32 v9, 2, v9
	ds_bpermute_b32 v12, v9, v25
	v_mov_b32_e32 v9, 0
	v_mov_b32_e32 v13, 0
	s_and_saveexec_b64 s[50:51], s[12:13]
	s_cbranch_execz .LBB2_55
; %bb.54:                               ;   in Loop: Header=BB2_44 Depth=2
	s_mul_i32 s41, s48, s15
	v_add_u32_e32 v13, s41, v4
	v_mad_u64_u32 v[26:27], s[52:53], v13, s15, v[6:7]
	v_mov_b32_e32 v27, v23
	v_lshl_add_u64 v[26:27], v[26:27], 2, s[20:21]
	global_load_dword v13, v[26:27], off
.LBB2_55:                               ;   in Loop: Header=BB2_44 Depth=2
	s_or_b64 exec, exec, s[50:51]
	s_and_b64 vcc, exec, s[4:5]
	s_waitcnt vmcnt(0)
	ds_write_b32 v18, v13
	s_waitcnt lgkmcnt(0)
	s_cbranch_vccnz .LBB2_58
; %bb.56:                               ;   in Loop: Header=BB2_44 Depth=2
	v_mov_b32_e32 v9, 0
	v_mov_b32_e32 v13, v16
	;; [unrolled: 1-line block ×3, first 2 shown]
	s_mov_b32 s41, s15
.LBB2_57:                               ;   Parent Loop BB2_13 Depth=1
                                        ;     Parent Loop BB2_44 Depth=2
                                        ; =>    This Inner Loop Header: Depth=3
	ds_read_b32 v26, v13
	ds_read_b32 v27, v25
	s_add_i32 s41, s41, -1
	v_add_u32_e32 v25, 4, v25
	v_add_u32_e32 v13, 36, v13
	s_cmp_eq_u32 s41, 0
	s_waitcnt lgkmcnt(0)
	v_fmac_f32_e32 v9, v26, v27
	s_cbranch_scc0 .LBB2_57
.LBB2_58:                               ;   in Loop: Header=BB2_44 Depth=2
	s_and_saveexec_b64 s[50:51], s[12:13]
	s_cbranch_execz .LBB2_42
; %bb.59:                               ;   in Loop: Header=BB2_44 Depth=2
	v_mad_u64_u32 v[12:13], s[52:53], v12, s15, v[4:5]
	v_mad_u64_u32 v[12:13], s[52:53], v12, s15, v[6:7]
	v_mov_b32_e32 v13, v23
	v_lshl_add_u64 v[12:13], v[12:13], 2, s[20:21]
	global_load_dword v25, v[12:13], off
	s_waitcnt vmcnt(0)
	v_sub_f32_e32 v9, v25, v9
	global_store_dword v[12:13], v9, off
	s_branch .LBB2_42
.LBB2_60:
	s_ashr_i32 s39, s38, 31
	s_lshl_b64 s[0:1], s[38:39], 2
	s_add_u32 s0, s18, s0
	s_addc_u32 s1, s19, s1
	v_mov_b32_e32 v8, 0
	global_load_dword v4, v8, s[0:1]
	s_waitcnt vmcnt(0)
	v_subrev_u32_e32 v4, s14, v4
	v_cmp_ne_u32_e32 vcc, s30, v4
	s_cbranch_vccnz .LBB2_86
; %bb.61:
	v_and_b32_e32 v4, 0x3ff, v0
	v_max_u32_e32 v6, v4, v1
	v_cmp_gt_u32_e64 s[0:1], s15, v6
	s_and_saveexec_b64 s[2:3], s[0:1]
	s_cbranch_execz .LBB2_63
; %bb.62:
	s_cmp_eq_u32 s40, 0
	s_cselect_b64 vcc, -1, 0
	s_mul_i32 s4, s38, s15
	v_cndmask_b32_e32 v8, v1, v4, vcc
	v_cndmask_b32_e32 v6, v4, v1, vcc
	v_add_u32_e32 v8, s4, v8
	v_mad_u64_u32 v[8:9], s[4:5], v8, s15, v[6:7]
	v_mov_b32_e32 v9, 0
	v_lshl_add_u64 v[8:9], v[8:9], 2, s[20:21]
	global_load_dword v8, v[8:9], off
.LBB2_63:
	s_or_b64 exec, exec, s[2:3]
	v_lshlrev_b32_e32 v11, 2, v4
	v_mad_u32_u24 v6, v1, 36, v11
	s_cmp_lt_i32 s15, 1
	s_waitcnt vmcnt(0)
	ds_write_b32 v6, v8
	s_waitcnt lgkmcnt(0)
	s_cbranch_scc1 .LBB2_83
; %bb.64:
	s_cmp_eq_u64 s[24:25], 8
	v_cvt_f64_f32_e32 v[8:9], v15
	s_cselect_b64 vcc, -1, 0
	v_cndmask_b32_e32 v2, v8, v2, vcc
	v_or_b32_e32 v8, v4, v1
	v_cndmask_b32_e64 v12, 0, 1, s[42:43]
	v_cndmask_b32_e32 v3, v9, v3, vcc
	s_mov_b32 s16, 0
	v_cmp_eq_u32_e64 s[2:3], 0, v8
	v_cmp_eq_u32_e64 s[4:5], 0, v1
	v_add3_u32 v8, v14, v11, 40
	v_mad_u32_u24 v9, v1, 36, 36
	v_add_u32_e32 v10, 1, v4
	v_add_u32_e32 v11, 4, v11
	v_cmp_ne_u32_e64 s[6:7], 1, v12
	v_mov_b32_e32 v12, v5
	s_mov_b32 s17, s15
	s_mov_b32 s18, 0
.LBB2_65:                               ; =>This Inner Loop Header: Depth=1
	v_mov_b32_e32 v13, s16
	s_waitcnt lgkmcnt(0)
	ds_read_b32 v15, v13
	s_mov_b64 s[12:13], -1
	s_mov_b64 s[8:9], 0
	s_and_b64 vcc, exec, s[6:7]
	s_mov_b64 s[10:11], 0
                                        ; implicit-def: $vgpr13
	s_cbranch_vccz .LBB2_72
; %bb.66:                               ;   in Loop: Header=BB2_65 Depth=1
	s_andn2_b64 vcc, exec, s[12:13]
	s_cbranch_vccz .LBB2_75
.LBB2_67:                               ;   in Loop: Header=BB2_65 Depth=1
	s_andn2_b64 vcc, exec, s[10:11]
                                        ; implicit-def: $sgpr10
	s_cbranch_vccz .LBB2_76
.LBB2_68:                               ;   in Loop: Header=BB2_65 Depth=1
	s_andn2_b64 vcc, exec, s[8:9]
	s_cbranch_vccnz .LBB2_70
.LBB2_69:                               ;   in Loop: Header=BB2_65 Depth=1
	s_add_i32 s10, s18, 1
	s_mov_b64 s[36:37], -1
.LBB2_70:                               ;   in Loop: Header=BB2_65 Depth=1
	s_add_i32 s17, s17, -1
	s_add_i32 s16, s16, 40
	v_add_u32_e32 v8, 40, v8
	v_add_u32_e32 v9, 40, v9
	;; [unrolled: 1-line block ×4, first 2 shown]
	s_cmp_eq_u32 s17, 0
	v_add_u32_e32 v11, 40, v11
	s_cbranch_scc1 .LBB2_83
; %bb.71:                               ;   in Loop: Header=BB2_65 Depth=1
	s_mov_b32 s18, s10
	s_branch .LBB2_65
.LBB2_72:                               ;   in Loop: Header=BB2_65 Depth=1
	s_waitcnt lgkmcnt(0)
	v_cmp_gt_f32_e32 vcc, 0, v15
	s_nop 1
	v_cndmask_b32_e64 v13, v15, -v15, vcc
	v_cvt_f64_f32_e32 v[16:17], v13
	v_cmp_ge_f64_e32 vcc, v[2:3], v[16:17]
	s_nop 1
	v_cndmask_b32_e32 v13, v15, v7, vcc
	s_and_saveexec_b64 s[10:11], s[2:3]
; %bb.73:                               ;   in Loop: Header=BB2_65 Depth=1
	v_mov_b32_e32 v16, s16
	ds_write_b32 v16, v13
; %bb.74:                               ;   in Loop: Header=BB2_65 Depth=1
	s_or_b64 exec, exec, s[10:11]
	s_mov_b64 s[10:11], -1
	s_cbranch_execnz .LBB2_67
.LBB2_75:                               ;   in Loop: Header=BB2_65 Depth=1
	s_waitcnt lgkmcnt(0)
	v_cmp_neq_f32_e64 s[10:11], 0, v15
	s_mov_b64 s[8:9], -1
	v_mov_b32_e32 v13, v15
	s_andn2_b64 vcc, exec, s[10:11]
                                        ; implicit-def: $sgpr10
	s_cbranch_vccnz .LBB2_68
.LBB2_76:                               ;   in Loop: Header=BB2_65 Depth=1
	v_cmp_gt_i32_e32 vcc, s15, v10
	s_and_saveexec_b64 s[8:9], vcc
	s_cbranch_execz .LBB2_81
; %bb.77:                               ;   in Loop: Header=BB2_65 Depth=1
	s_waitcnt lgkmcnt(0)
	ds_read_b32 v15, v11
	s_waitcnt lgkmcnt(0)
	v_div_scale_f32 v16, s[10:11], v13, v13, v15
	v_rcp_f32_e32 v17, v16
	v_div_scale_f32 v18, vcc, v15, v13, v15
	v_fma_f32 v19, -v16, v17, 1.0
	v_fmac_f32_e32 v17, v19, v17
	v_mul_f32_e32 v19, v18, v17
	v_fma_f32 v20, -v16, v19, v18
	v_fmac_f32_e32 v19, v20, v17
	v_fma_f32 v16, -v16, v19, v18
	v_div_fmas_f32 v16, v16, v17, v19
	v_div_fixup_f32 v13, v16, v13, v15
	s_and_saveexec_b64 s[10:11], s[4:5]
; %bb.78:                               ;   in Loop: Header=BB2_65 Depth=1
	ds_write_b32 v11, v13
; %bb.79:                               ;   in Loop: Header=BB2_65 Depth=1
	s_or_b64 exec, exec, s[10:11]
	v_cmp_gt_i32_e32 vcc, s15, v12
	s_and_b64 exec, exec, vcc
	s_cbranch_execz .LBB2_81
; %bb.80:                               ;   in Loop: Header=BB2_65 Depth=1
	ds_read_b32 v15, v9
	ds_read_b32 v16, v8
	s_waitcnt lgkmcnt(0)
	v_fma_f32 v13, -v13, v15, v16
	ds_write_b32 v8, v13
.LBB2_81:                               ;   in Loop: Header=BB2_65 Depth=1
	s_or_b64 exec, exec, s[8:9]
	s_add_i32 s10, s18, 1
	s_cbranch_execz .LBB2_69
	s_branch .LBB2_70
.LBB2_82:
	s_mov_b64 s[36:37], -1
	s_branch .LBB2_110
.LBB2_83:
	s_waitcnt lgkmcnt(0)
	s_and_saveexec_b64 s[2:3], s[0:1]
	s_cbranch_execz .LBB2_85
; %bb.84:
	s_cmp_eq_u32 s40, 0
	s_cselect_b64 vcc, -1, 0
	ds_read_b32 v6, v6
	s_mul_i32 s0, s38, s15
	v_cndmask_b32_e32 v3, v1, v4, vcc
	v_cndmask_b32_e32 v2, v4, v1, vcc
	v_add_u32_e32 v3, s0, v3
	v_mad_u64_u32 v[2:3], s[0:1], v3, s15, v[2:3]
	v_mov_b32_e32 v3, 0
	v_lshl_add_u64 v[2:3], v[2:3], 2, s[20:21]
	s_waitcnt lgkmcnt(0)
	global_store_dword v[2:3], v6, off
.LBB2_85:
	s_or_b64 exec, exec, s[2:3]
.LBB2_86:
	s_add_i32 s10, s38, 1
	s_cmp_ge_i32 s10, s31
	s_cbranch_scc1 .LBB2_110
; %bb.87:
	s_cmp_eq_u32 s40, 0
	s_cselect_b64 vcc, -1, 0
	s_cmp_gt_i32 s15, 0
	s_cselect_b64 s[2:3], -1, 0
	s_add_i32 s4, s15, -1
	s_and_b32 s11, s15, 3
	v_and_b32_e32 v4, 0x3ff, v0
	s_cmp_gt_u32 s4, 2
	s_cselect_b64 s[4:5], -1, 0
	s_and_b32 s12, s15, 0x7ffffffc
	v_lshlrev_b32_e32 v9, 2, v1
	v_mul_u32_u24_e32 v6, 36, v4
	s_movk_i32 s6, 0x124
	s_cmp_lg_u32 s11, 0
	v_add3_u32 v11, v6, v9, s6
	v_cndmask_b32_e64 v6, 0, 1, s[2:3]
	v_lshlrev_b32_e32 v2, 2, v4
	s_movk_i32 s0, 0x120
	v_cmp_ne_u32_e64 s[2:3], 1, v6
	v_cndmask_b32_e64 v6, 0, 1, s[4:5]
	s_cselect_b64 s[6:7], -1, 0
	v_add3_u32 v3, v14, v2, s0
	v_max_u32_e32 v2, v4, v1
	v_mov_b32_e32 v7, 0x120
	v_cmp_ne_u32_e64 s[4:5], 1, v6
	v_cndmask_b32_e64 v6, 0, 1, s[6:7]
	v_cmp_gt_u32_e64 s[0:1], s15, v2
	v_cndmask_b32_e32 v8, v1, v4, vcc
	v_cndmask_b32_e32 v2, v4, v1, vcc
	v_mad_u32_u24 v10, v4, 36, v7
	v_add_u32_e32 v4, 4, v9
	v_mov_b32_e32 v12, 0
	v_cmp_ne_u32_e64 s[6:7], 1, v6
	s_branch .LBB2_89
.LBB2_88:                               ;   in Loop: Header=BB2_89 Depth=1
	s_or_b64 exec, exec, s[8:9]
	s_add_i32 s10, s10, 1
	s_cmp_lt_i32 s10, s31
	s_cbranch_scc0 .LBB2_110
.LBB2_89:                               ; =>This Loop Header: Depth=1
                                        ;     Child Loop BB2_95 Depth 2
                                        ;     Child Loop BB2_106 Depth 2
	s_mul_i32 s8, s10, s15
	v_add_u32_e32 v13, s8, v8
	v_mov_b32_e32 v6, 0
	s_waitcnt lgkmcnt(0)
	s_and_saveexec_b64 s[8:9], s[0:1]
	s_cbranch_execz .LBB2_91
; %bb.90:                               ;   in Loop: Header=BB2_89 Depth=1
	v_mad_u64_u32 v[6:7], s[16:17], v13, s15, v[2:3]
	v_mov_b32_e32 v7, v12
	v_lshl_add_u64 v[6:7], v[6:7], 2, s[20:21]
	global_load_dword v6, v[6:7], off
.LBB2_91:                               ;   in Loop: Header=BB2_89 Depth=1
	s_or_b64 exec, exec, s[8:9]
	s_and_b64 vcc, exec, s[2:3]
	s_waitcnt vmcnt(0)
	ds_write_b32 v3, v6
	s_waitcnt lgkmcnt(0)
	s_cbranch_vccnz .LBB2_108
; %bb.92:                               ;   in Loop: Header=BB2_89 Depth=1
	s_and_b64 vcc, exec, s[4:5]
	s_mov_b32 s8, 0
	s_cbranch_vccnz .LBB2_103
; %bb.93:                               ;   in Loop: Header=BB2_89 Depth=1
	s_mov_b32 s13, 0
	s_mov_b32 s16, 4
	v_mov_b32_e32 v6, v10
	s_branch .LBB2_95
.LBB2_94:                               ;   in Loop: Header=BB2_95 Depth=2
	s_or_b64 exec, exec, s[8:9]
	s_add_i32 s13, s13, 4
	s_addk_i32 s16, 0xa0
	v_add_u32_e32 v6, 16, v6
	s_cmp_eq_u32 s12, s13
	s_mov_b32 s8, s12
	s_cbranch_scc1 .LBB2_103
.LBB2_95:                               ;   Parent Loop BB2_89 Depth=1
                                        ; =>  This Inner Loop Header: Depth=2
	v_add_u32_e32 v15, s13, v1
	v_add_u32_e32 v7, 1, v15
	v_cmp_gt_i32_e32 vcc, s15, v7
	v_add_u32_e32 v14, s16, v9
	v_add_u32_e32 v7, v6, v9
	s_and_saveexec_b64 s[8:9], vcc
	s_cbranch_execz .LBB2_97
; %bb.96:                               ;   in Loop: Header=BB2_95 Depth=2
	ds_read_b32 v16, v14
	ds_read_b32 v17, v6
	ds_read_b32 v18, v7 offset:4
	s_waitcnt lgkmcnt(0)
	v_fma_f32 v16, -v16, v17, v18
	ds_write_b32 v7, v16 offset:4
.LBB2_97:                               ;   in Loop: Header=BB2_95 Depth=2
	s_or_b64 exec, exec, s[8:9]
	v_add_u32_e32 v16, 2, v15
	v_cmp_gt_i32_e32 vcc, s15, v16
	s_and_saveexec_b64 s[8:9], vcc
	s_cbranch_execz .LBB2_99
; %bb.98:                               ;   in Loop: Header=BB2_95 Depth=2
	ds_read_b32 v16, v14 offset:40
	ds_read_b32 v17, v6 offset:4
	;; [unrolled: 1-line block ×3, first 2 shown]
	s_waitcnt lgkmcnt(0)
	v_fma_f32 v16, -v16, v17, v18
	ds_write_b32 v7, v16 offset:8
.LBB2_99:                               ;   in Loop: Header=BB2_95 Depth=2
	s_or_b64 exec, exec, s[8:9]
	v_add_u32_e32 v16, 3, v15
	v_cmp_gt_i32_e32 vcc, s15, v16
	s_and_saveexec_b64 s[8:9], vcc
	s_cbranch_execz .LBB2_101
; %bb.100:                              ;   in Loop: Header=BB2_95 Depth=2
	ds_read_b32 v16, v14 offset:80
	ds_read_b32 v17, v6 offset:8
	;; [unrolled: 1-line block ×3, first 2 shown]
	s_waitcnt lgkmcnt(0)
	v_fma_f32 v16, -v16, v17, v18
	ds_write_b32 v7, v16 offset:12
.LBB2_101:                              ;   in Loop: Header=BB2_95 Depth=2
	s_or_b64 exec, exec, s[8:9]
	v_add_u32_e32 v15, 4, v15
	v_cmp_gt_i32_e32 vcc, s15, v15
	s_and_saveexec_b64 s[8:9], vcc
	s_cbranch_execz .LBB2_94
; %bb.102:                              ;   in Loop: Header=BB2_95 Depth=2
	ds_read_b32 v14, v14 offset:120
	ds_read_b32 v15, v6 offset:12
	;; [unrolled: 1-line block ×3, first 2 shown]
	s_waitcnt lgkmcnt(0)
	v_fma_f32 v14, -v14, v15, v16
	ds_write_b32 v7, v14 offset:16
	s_branch .LBB2_94
.LBB2_103:                              ;   in Loop: Header=BB2_89 Depth=1
	s_and_b64 vcc, exec, s[6:7]
	s_cbranch_vccnz .LBB2_108
; %bb.104:                              ;   in Loop: Header=BB2_89 Depth=1
	v_mad_u64_u32 v[6:7], s[16:17], s8, 40, v[4:5]
	s_lshl_b32 s9, s8, 2
	v_add_u32_e32 v7, s9, v11
	v_add_u32_e32 v14, s9, v10
	;; [unrolled: 1-line block ×3, first 2 shown]
	s_mov_b32 s13, s11
	s_branch .LBB2_106
.LBB2_105:                              ;   in Loop: Header=BB2_106 Depth=2
	s_or_b64 exec, exec, s[8:9]
	s_add_i32 s13, s13, -1
	v_add_u32_e32 v6, 40, v6
	v_add_u32_e32 v7, 4, v7
	;; [unrolled: 1-line block ×3, first 2 shown]
	s_cmp_lg_u32 s13, 0
	v_add_u32_e32 v15, 1, v15
	s_cbranch_scc0 .LBB2_108
.LBB2_106:                              ;   Parent Loop BB2_89 Depth=1
                                        ; =>  This Inner Loop Header: Depth=2
	v_cmp_gt_i32_e32 vcc, s15, v15
	s_and_saveexec_b64 s[8:9], vcc
	s_cbranch_execz .LBB2_105
; %bb.107:                              ;   in Loop: Header=BB2_106 Depth=2
	ds_read_b32 v16, v6
	ds_read_b32 v17, v14
	ds_read_b32 v18, v7
	s_waitcnt lgkmcnt(0)
	v_fma_f32 v16, -v16, v17, v18
	ds_write_b32 v7, v16
	s_branch .LBB2_105
.LBB2_108:                              ;   in Loop: Header=BB2_89 Depth=1
	s_waitcnt lgkmcnt(0)
	s_and_saveexec_b64 s[8:9], s[0:1]
	s_cbranch_execz .LBB2_88
; %bb.109:                              ;   in Loop: Header=BB2_89 Depth=1
	ds_read_b32 v14, v3
	v_mad_u64_u32 v[6:7], s[16:17], v13, s15, v[2:3]
	v_mov_b32_e32 v7, v12
	v_lshl_add_u64 v[6:7], v[6:7], 2, s[20:21]
	s_waitcnt lgkmcnt(0)
	global_store_dword v[6:7], v14, off
	s_branch .LBB2_88
.LBB2_110:
	v_and_b32_e32 v0, 0xfffff, v0
	v_cmp_eq_u32_e32 vcc, 0, v0
	s_and_saveexec_b64 s[0:1], vcc
	s_cbranch_execz .LBB2_114
; %bb.111:
	s_add_u32 s0, s28, s34
	s_addc_u32 s1, s29, s35
	v_mov_b32_e32 v0, 0
	v_mov_b32_e32 v1, 1
	s_andn2_b64 vcc, exec, s[36:37]
	buffer_wbl2 sc1
	s_waitcnt vmcnt(0) lgkmcnt(0)
	global_store_dword v0, v1, s[0:1] sc1
	s_cbranch_vccnz .LBB2_114
; %bb.112:
	v_mbcnt_lo_u32_b32 v0, exec_lo, 0
	v_mbcnt_hi_u32_b32 v0, exec_hi, v0
	v_cmp_eq_u32_e32 vcc, 0, v0
	s_and_b64 exec, exec, vcc
	s_cbranch_execz .LBB2_114
; %bb.113:
	s_add_i32 s0, s30, s14
	v_mov_b32_e32 v0, 0
	v_mov_b32_e32 v1, s0
	global_atomic_smin v0, v1, s[26:27]
.LBB2_114:
	s_endpgm
	.section	.rodata,"a",@progbits
	.p2align	6, 0x0
	.amdhsa_kernel _ZN9rocsparseL11bsrilu0_2_8ILj64ELj64ELj8EfEEv20rocsparse_direction_iPKiS3_PT2_S3_iPiS3_S6_21rocsparse_index_base_imNS_24const_host_device_scalarIfEENS8_IdEENS8_IS4_EEb
		.amdhsa_group_segment_fixed_size 576
		.amdhsa_private_segment_fixed_size 0
		.amdhsa_kernarg_size 376
		.amdhsa_user_sgpr_count 2
		.amdhsa_user_sgpr_dispatch_ptr 0
		.amdhsa_user_sgpr_queue_ptr 0
		.amdhsa_user_sgpr_kernarg_segment_ptr 1
		.amdhsa_user_sgpr_dispatch_id 0
		.amdhsa_user_sgpr_kernarg_preload_length 0
		.amdhsa_user_sgpr_kernarg_preload_offset 0
		.amdhsa_user_sgpr_private_segment_size 0
		.amdhsa_uses_dynamic_stack 0
		.amdhsa_enable_private_segment 0
		.amdhsa_system_sgpr_workgroup_id_x 1
		.amdhsa_system_sgpr_workgroup_id_y 0
		.amdhsa_system_sgpr_workgroup_id_z 0
		.amdhsa_system_sgpr_workgroup_info 0
		.amdhsa_system_vgpr_workitem_id 1
		.amdhsa_next_free_vgpr 30
		.amdhsa_next_free_sgpr 56
		.amdhsa_accum_offset 32
		.amdhsa_reserve_vcc 1
		.amdhsa_float_round_mode_32 0
		.amdhsa_float_round_mode_16_64 0
		.amdhsa_float_denorm_mode_32 3
		.amdhsa_float_denorm_mode_16_64 3
		.amdhsa_dx10_clamp 1
		.amdhsa_ieee_mode 1
		.amdhsa_fp16_overflow 0
		.amdhsa_tg_split 0
		.amdhsa_exception_fp_ieee_invalid_op 0
		.amdhsa_exception_fp_denorm_src 0
		.amdhsa_exception_fp_ieee_div_zero 0
		.amdhsa_exception_fp_ieee_overflow 0
		.amdhsa_exception_fp_ieee_underflow 0
		.amdhsa_exception_fp_ieee_inexact 0
		.amdhsa_exception_int_div_zero 0
	.end_amdhsa_kernel
	.section	.text._ZN9rocsparseL11bsrilu0_2_8ILj64ELj64ELj8EfEEv20rocsparse_direction_iPKiS3_PT2_S3_iPiS3_S6_21rocsparse_index_base_imNS_24const_host_device_scalarIfEENS8_IdEENS8_IS4_EEb,"axG",@progbits,_ZN9rocsparseL11bsrilu0_2_8ILj64ELj64ELj8EfEEv20rocsparse_direction_iPKiS3_PT2_S3_iPiS3_S6_21rocsparse_index_base_imNS_24const_host_device_scalarIfEENS8_IdEENS8_IS4_EEb,comdat
.Lfunc_end2:
	.size	_ZN9rocsparseL11bsrilu0_2_8ILj64ELj64ELj8EfEEv20rocsparse_direction_iPKiS3_PT2_S3_iPiS3_S6_21rocsparse_index_base_imNS_24const_host_device_scalarIfEENS8_IdEENS8_IS4_EEb, .Lfunc_end2-_ZN9rocsparseL11bsrilu0_2_8ILj64ELj64ELj8EfEEv20rocsparse_direction_iPKiS3_PT2_S3_iPiS3_S6_21rocsparse_index_base_imNS_24const_host_device_scalarIfEENS8_IdEENS8_IS4_EEb
                                        ; -- End function
	.set _ZN9rocsparseL11bsrilu0_2_8ILj64ELj64ELj8EfEEv20rocsparse_direction_iPKiS3_PT2_S3_iPiS3_S6_21rocsparse_index_base_imNS_24const_host_device_scalarIfEENS8_IdEENS8_IS4_EEb.num_vgpr, 30
	.set _ZN9rocsparseL11bsrilu0_2_8ILj64ELj64ELj8EfEEv20rocsparse_direction_iPKiS3_PT2_S3_iPiS3_S6_21rocsparse_index_base_imNS_24const_host_device_scalarIfEENS8_IdEENS8_IS4_EEb.num_agpr, 0
	.set _ZN9rocsparseL11bsrilu0_2_8ILj64ELj64ELj8EfEEv20rocsparse_direction_iPKiS3_PT2_S3_iPiS3_S6_21rocsparse_index_base_imNS_24const_host_device_scalarIfEENS8_IdEENS8_IS4_EEb.numbered_sgpr, 56
	.set _ZN9rocsparseL11bsrilu0_2_8ILj64ELj64ELj8EfEEv20rocsparse_direction_iPKiS3_PT2_S3_iPiS3_S6_21rocsparse_index_base_imNS_24const_host_device_scalarIfEENS8_IdEENS8_IS4_EEb.num_named_barrier, 0
	.set _ZN9rocsparseL11bsrilu0_2_8ILj64ELj64ELj8EfEEv20rocsparse_direction_iPKiS3_PT2_S3_iPiS3_S6_21rocsparse_index_base_imNS_24const_host_device_scalarIfEENS8_IdEENS8_IS4_EEb.private_seg_size, 0
	.set _ZN9rocsparseL11bsrilu0_2_8ILj64ELj64ELj8EfEEv20rocsparse_direction_iPKiS3_PT2_S3_iPiS3_S6_21rocsparse_index_base_imNS_24const_host_device_scalarIfEENS8_IdEENS8_IS4_EEb.uses_vcc, 1
	.set _ZN9rocsparseL11bsrilu0_2_8ILj64ELj64ELj8EfEEv20rocsparse_direction_iPKiS3_PT2_S3_iPiS3_S6_21rocsparse_index_base_imNS_24const_host_device_scalarIfEENS8_IdEENS8_IS4_EEb.uses_flat_scratch, 0
	.set _ZN9rocsparseL11bsrilu0_2_8ILj64ELj64ELj8EfEEv20rocsparse_direction_iPKiS3_PT2_S3_iPiS3_S6_21rocsparse_index_base_imNS_24const_host_device_scalarIfEENS8_IdEENS8_IS4_EEb.has_dyn_sized_stack, 0
	.set _ZN9rocsparseL11bsrilu0_2_8ILj64ELj64ELj8EfEEv20rocsparse_direction_iPKiS3_PT2_S3_iPiS3_S6_21rocsparse_index_base_imNS_24const_host_device_scalarIfEENS8_IdEENS8_IS4_EEb.has_recursion, 0
	.set _ZN9rocsparseL11bsrilu0_2_8ILj64ELj64ELj8EfEEv20rocsparse_direction_iPKiS3_PT2_S3_iPiS3_S6_21rocsparse_index_base_imNS_24const_host_device_scalarIfEENS8_IdEENS8_IS4_EEb.has_indirect_call, 0
	.section	.AMDGPU.csdata,"",@progbits
; Kernel info:
; codeLenInByte = 3732
; TotalNumSgprs: 62
; NumVgprs: 30
; NumAgprs: 0
; TotalNumVgprs: 30
; ScratchSize: 0
; MemoryBound: 0
; FloatMode: 240
; IeeeMode: 1
; LDSByteSize: 576 bytes/workgroup (compile time only)
; SGPRBlocks: 7
; VGPRBlocks: 3
; NumSGPRsForWavesPerEU: 62
; NumVGPRsForWavesPerEU: 30
; AccumOffset: 32
; Occupancy: 8
; WaveLimiterHint : 1
; COMPUTE_PGM_RSRC2:SCRATCH_EN: 0
; COMPUTE_PGM_RSRC2:USER_SGPR: 2
; COMPUTE_PGM_RSRC2:TRAP_HANDLER: 0
; COMPUTE_PGM_RSRC2:TGID_X_EN: 1
; COMPUTE_PGM_RSRC2:TGID_Y_EN: 0
; COMPUTE_PGM_RSRC2:TGID_Z_EN: 0
; COMPUTE_PGM_RSRC2:TIDIG_COMP_CNT: 1
; COMPUTE_PGM_RSRC3_GFX90A:ACCUM_OFFSET: 7
; COMPUTE_PGM_RSRC3_GFX90A:TG_SPLIT: 0
	.section	.text._ZN9rocsparseL12bsrilu0_9_32ILj64ELj64ELj16EfEEv20rocsparse_direction_iPKiS3_PT2_S3_iPiS3_S6_21rocsparse_index_base_imNS_24const_host_device_scalarIfEENS8_IdEENS8_IS4_EEb,"axG",@progbits,_ZN9rocsparseL12bsrilu0_9_32ILj64ELj64ELj16EfEEv20rocsparse_direction_iPKiS3_PT2_S3_iPiS3_S6_21rocsparse_index_base_imNS_24const_host_device_scalarIfEENS8_IdEENS8_IS4_EEb,comdat
	.globl	_ZN9rocsparseL12bsrilu0_9_32ILj64ELj64ELj16EfEEv20rocsparse_direction_iPKiS3_PT2_S3_iPiS3_S6_21rocsparse_index_base_imNS_24const_host_device_scalarIfEENS8_IdEENS8_IS4_EEb ; -- Begin function _ZN9rocsparseL12bsrilu0_9_32ILj64ELj64ELj16EfEEv20rocsparse_direction_iPKiS3_PT2_S3_iPiS3_S6_21rocsparse_index_base_imNS_24const_host_device_scalarIfEENS8_IdEENS8_IS4_EEb
	.p2align	8
	.type	_ZN9rocsparseL12bsrilu0_9_32ILj64ELj64ELj16EfEEv20rocsparse_direction_iPKiS3_PT2_S3_iPiS3_S6_21rocsparse_index_base_imNS_24const_host_device_scalarIfEENS8_IdEENS8_IS4_EEb,@function
_ZN9rocsparseL12bsrilu0_9_32ILj64ELj64ELj16EfEEv20rocsparse_direction_iPKiS3_PT2_S3_iPiS3_S6_21rocsparse_index_base_imNS_24const_host_device_scalarIfEENS8_IdEENS8_IS4_EEb: ; @_ZN9rocsparseL12bsrilu0_9_32ILj64ELj64ELj16EfEEv20rocsparse_direction_iPKiS3_PT2_S3_iPiS3_S6_21rocsparse_index_base_imNS_24const_host_device_scalarIfEENS8_IdEENS8_IS4_EEb
; %bb.0:
	s_load_dword s3, s[0:1], 0x70
	s_load_dwordx2 s[26:27], s[0:1], 0x48
	s_load_dwordx8 s[44:51], s[0:1], 0x50
	s_waitcnt lgkmcnt(0)
	s_bitcmp1_b32 s3, 0
	s_cselect_b64 s[4:5], -1, 0
	s_cmp_eq_u32 s27, 0
	s_cselect_b64 s[6:7], -1, 0
	s_cmp_lg_u32 s27, 0
	s_cselect_b64 s[54:55], -1, 0
	s_or_b64 s[4:5], s[6:7], s[4:5]
	s_xor_b64 s[8:9], s[4:5], -1
	s_and_b64 s[10:11], s[6:7], exec
	s_cselect_b32 s11, 0, s49
	s_cselect_b32 s10, 0, s48
	s_and_b64 vcc, exec, s[4:5]
	s_cbranch_vccnz .LBB3_2
; %bb.1:
	s_load_dword s3, s[46:47], 0x0
	s_mov_b64 s[10:11], s[48:49]
	s_waitcnt lgkmcnt(0)
	v_mov_b32_e32 v17, s3
	s_branch .LBB3_3
.LBB3_2:
	v_mov_b32_e32 v1, s46
	v_cndmask_b32_e64 v17, v1, 0, s[6:7]
.LBB3_3:
	v_cndmask_b32_e64 v1, 0, 1, s[8:9]
	v_cmp_ne_u32_e64 s[4:5], 1, v1
	s_andn2_b64 vcc, exec, s[8:9]
	v_mov_b64_e32 v[2:3], s[10:11]
	s_cbranch_vccnz .LBB3_5
; %bb.4:
	v_mov_b64_e32 v[2:3], s[48:49]
	flat_load_dwordx2 v[2:3], v[2:3]
.LBB3_5:
	s_and_b64 vcc, exec, s[4:5]
	s_mov_b32 s3, 0
	s_cbranch_vccnz .LBB3_7
; %bb.6:
	s_load_dword s4, s[50:51], 0x0
	s_waitcnt lgkmcnt(0)
	v_mov_b32_e32 v16, s4
	s_branch .LBB3_8
.LBB3_7:
	v_mov_b32_e32 v1, s50
	v_cndmask_b32_e64 v16, v1, 0, s[6:7]
.LBB3_8:
	s_load_dwordx4 s[28:31], s[0:1], 0x30
	s_load_dwordx2 s[34:35], s[0:1], 0x40
	s_lshl_b64 s[2:3], s[2:3], 2
	s_waitcnt lgkmcnt(0)
	s_add_u32 s2, s30, s2
	s_addc_u32 s3, s31, s3
	s_load_dword s30, s[2:3], 0x0
	s_load_dwordx8 s[36:43], s[0:1], 0x8
	s_waitcnt lgkmcnt(0)
	s_ashr_i32 s31, s30, 31
	s_lshl_b64 s[46:47], s[30:31], 2
	s_add_u32 s2, s42, s46
	s_addc_u32 s3, s43, s47
	s_load_dword s50, s[2:3], 0x0
	s_waitcnt lgkmcnt(0)
	s_cmp_eq_u32 s50, -1
	s_cbranch_scc1 .LBB3_145
; %bb.9:
	s_add_u32 s2, s36, s46
	s_addc_u32 s3, s37, s47
	s_load_dwordx2 s[4:5], s[2:3], 0x0
	s_load_dwordx2 s[52:53], s[0:1], 0x0
	s_load_dword s27, s[0:1], 0x28
	s_mov_b64 s[48:49], 0
	s_waitcnt lgkmcnt(0)
	s_sub_i32 s56, s4, s26
	s_sub_i32 s31, s5, s26
	s_cmp_ge_i32 s56, s50
	s_cbranch_scc1 .LBB3_127
; %bb.10:
	v_bfe_u32 v4, v0, 10, 10
	v_and_b32_e32 v18, 0x3ff, v0
	v_lshlrev_b32_e32 v1, 4, v4
	s_cmp_lg_u32 s52, 0
	v_add3_u32 v6, v1, v18, s56
	v_xad_u32 v1, v4, -1, s27
	s_cselect_b64 s[58:59], -1, 0
	s_cmp_eq_u32 s52, 0
	v_lshrrev_b32_e32 v5, 2, v1
	s_cselect_b64 s[6:7], -1, 0
	s_cmp_gt_i32 s27, 0
	v_add_u32_e32 v10, 1, v5
	s_mul_i32 s16, s27, s56
	s_cselect_b64 s[60:61], -1, 0
	s_add_i32 s33, s53, 1
	v_lshlrev_b32_e32 v21, 2, v18
	v_cmp_lt_u32_e64 s[12:13], 3, v1
	v_and_b32_e32 v22, 0x7ffffffe, v10
	s_movk_i32 s53, 0x44
	v_add_u32_e32 v1, s16, v18
	v_ashrrev_i32_e32 v7, 31, v6
	v_lshl_add_u32 v23, v22, 2, v4
	v_add_u32_e32 v24, 0x440, v21
	v_mad_u32_u24 v27, v4, s53, v21
	v_mul_lo_u32 v29, s27, v1
	v_mbcnt_lo_u32_b32 v1, -1, 0
	v_cmp_gt_i32_e64 s[0:1], s27, v18
	v_cmp_le_i32_e64 s[2:3], s27, v18
	v_cmp_gt_i32_e64 s[4:5], s27, v4
	v_cmp_eq_u32_e64 s[8:9], 0, v4
	v_add_u32_e32 v19, 1, v4
	v_cmp_gt_i32_e64 s[10:11], s31, v6
	v_lshl_add_u64 v[8:9], v[6:7], 2, s[38:39]
	v_add_u32_e32 v7, 5, v4
	v_sub_u32_e32 v20, -2, v4
	s_mov_b32 s51, s27
	v_add_u32_e32 v5, 4, v4
	v_cmp_ne_u32_e64 s[14:15], v10, v22
	v_mad_u32_u24 v25, v4, s53, v24
	v_mul_u32_u24_e32 v26, 0x44, v4
	v_add_u32_e32 v28, 0x440, v27
	s_mul_i32 s72, s27, s27
	s_lshl_b32 s73, s27, 4
	v_add_u32_e32 v30, 0x484, v27
	v_mad_u32_u24 v31, v4, s53, s53
	v_mov_b32_e32 v32, 0
	v_mul_lo_u32 v33, v23, s53
	s_movk_i32 s74, 0x110
	v_mbcnt_hi_u32_b32 v34, -1, v1
	s_branch .LBB3_13
.LBB3_11:                               ;   in Loop: Header=BB3_13 Depth=1
	s_mov_b64 s[48:49], -1
.LBB3_12:                               ;   in Loop: Header=BB3_13 Depth=1
	s_add_i32 s56, s56, 1
	s_cmp_lt_i32 s56, s50
	s_cselect_b64 s[18:19], -1, 0
	s_and_b64 s[16:17], s[16:17], s[18:19]
	v_add_u32_e32 v29, s72, v29
	s_and_b64 vcc, exec, s[16:17]
	s_cbranch_vccz .LBB3_127
.LBB3_13:                               ; =>This Loop Header: Depth=1
                                        ;     Child Loop BB3_16 Depth 2
                                        ;       Child Loop BB3_19 Depth 3
                                        ;       Child Loop BB3_26 Depth 3
                                        ;     Child Loop BB3_32 Depth 2
                                        ;     Child Loop BB3_36 Depth 2
                                        ;       Child Loop BB3_39 Depth 3
                                        ;       Child Loop BB3_46 Depth 3
                                        ;     Child Loop BB3_53 Depth 2
                                        ;       Child Loop BB3_56 Depth 3
                                        ;         Child Loop BB3_61 Depth 4
                                        ;         Child Loop BB3_65 Depth 4
                                        ;     Child Loop BB3_69 Depth 2
                                        ;       Child Loop BB3_72 Depth 3
                                        ;       Child Loop BB3_79 Depth 3
                                        ;     Child Loop BB3_88 Depth 2
                                        ;       Child Loop BB3_93 Depth 3
                                        ;       Child Loop BB3_102 Depth 3
                                        ;         Child Loop BB3_105 Depth 4
                                        ;         Child Loop BB3_112 Depth 4
                                        ;       Child Loop BB3_118 Depth 3
                                        ;         Child Loop BB3_121 Depth 4
                                        ;           Child Loop BB3_122 Depth 5
	s_ashr_i32 s57, s56, 31
	s_lshl_b64 s[16:17], s[56:57], 2
	s_add_u32 s16, s38, s16
	s_addc_u32 s17, s39, s17
	global_load_dword v1, v32, s[16:17]
	s_waitcnt vmcnt(0)
	v_readfirstlane_b32 s57, v1
	s_and_saveexec_b64 s[16:17], s[0:1]
	s_cbranch_execz .LBB3_30
; %bb.14:                               ;   in Loop: Header=BB3_13 Depth=1
	s_mul_i32 s64, s56, s27
	s_mov_b32 s65, s64
	s_mov_b64 s[18:19], 0
	v_mov_b32_e32 v11, v24
	v_mov_b32_e32 v35, v29
	;; [unrolled: 1-line block ×4, first 2 shown]
	s_branch .LBB3_16
.LBB3_15:                               ;   in Loop: Header=BB3_16 Depth=2
	s_or_b64 exec, exec, s[20:21]
	v_add_u32_e32 v10, 16, v10
	v_cmp_le_i32_e32 vcc, s27, v10
	v_add_u32_e32 v36, 64, v36
	v_add_u32_e32 v35, s73, v35
	s_or_b64 s[18:19], vcc, s[18:19]
	v_add_u32_e32 v11, 64, v11
	s_andn2_b64 exec, exec, s[18:19]
	s_cbranch_execz .LBB3_30
.LBB3_16:                               ;   Parent Loop BB3_13 Depth=1
                                        ; =>  This Loop Header: Depth=2
                                        ;       Child Loop BB3_19 Depth 3
                                        ;       Child Loop BB3_26 Depth 3
	s_and_saveexec_b64 s[20:21], s[4:5]
	s_cbranch_execz .LBB3_15
; %bb.17:                               ;   in Loop: Header=BB3_16 Depth=2
	s_mov_b64 s[24:25], -1
	v_mov_b32_e32 v1, v4
	v_mov_b32_e32 v12, v26
	s_and_saveexec_b64 s[22:23], s[12:13]
	s_cbranch_execz .LBB3_23
; %bb.18:                               ;   in Loop: Header=BB3_16 Depth=2
	v_add_u32_e32 v1, s64, v10
	v_mul_lo_u32 v12, v1, s27
	v_mov_b32_e32 v1, v12
	s_mov_b64 s[24:25], 0
	v_mov_b32_e32 v13, v22
	v_mov_b32_e32 v37, v36
	v_mov_b64_e32 v[14:15], v[4:5]
.LBB3_19:                               ;   Parent Loop BB3_13 Depth=1
                                        ;     Parent Loop BB3_16 Depth=2
                                        ; =>    This Inner Loop Header: Depth=3
	v_add_u32_e32 v40, s64, v14
	v_add_u32_e32 v38, s65, v15
	;; [unrolled: 1-line block ×4, first 2 shown]
	v_mad_u64_u32 v[38:39], s[62:63], v38, s51, v[10:11]
	v_mad_u64_u32 v[40:41], s[62:63], v40, s27, v[10:11]
	v_cndmask_b32_e64 v40, v40, v43, s[6:7]
	v_cndmask_b32_e64 v38, v38, v42, s[6:7]
	v_ashrrev_i32_e32 v39, 31, v38
	v_ashrrev_i32_e32 v41, 31, v40
	v_lshl_add_u64 v[40:41], v[40:41], 2, s[40:41]
	v_lshl_add_u64 v[38:39], v[38:39], 2, s[40:41]
	global_load_dword v40, v[40:41], off
	s_nop 0
	global_load_dword v38, v[38:39], off
	v_add_u32_e32 v13, -2, v13
	v_cmp_eq_u32_e32 vcc, 0, v13
	v_add_u32_e32 v15, 8, v15
	v_add_u32_e32 v14, 8, v14
	s_or_b64 s[24:25], vcc, s[24:25]
	s_waitcnt vmcnt(0)
	ds_write2_b32 v37, v40, v38 offset1:68
	v_add_u32_e32 v37, 0x220, v37
	s_andn2_b64 exec, exec, s[24:25]
	s_cbranch_execnz .LBB3_19
; %bb.20:                               ;   in Loop: Header=BB3_16 Depth=2
	s_or_b64 exec, exec, s[24:25]
	s_mov_b64 s[24:25], 0
	s_and_saveexec_b64 s[62:63], s[14:15]
; %bb.21:                               ;   in Loop: Header=BB3_16 Depth=2
	s_mov_b64 s[24:25], exec
; %bb.22:                               ;   in Loop: Header=BB3_16 Depth=2
	s_or_b64 exec, exec, s[62:63]
	s_orn2_b64 s[24:25], s[24:25], exec
	v_mov_b32_e32 v1, v23
	v_mov_b32_e32 v12, v33
.LBB3_23:                               ;   in Loop: Header=BB3_16 Depth=2
	s_or_b64 exec, exec, s[22:23]
	s_and_b64 exec, exec, s[24:25]
	s_cbranch_execz .LBB3_15
; %bb.24:                               ;   in Loop: Header=BB3_16 Depth=2
	v_add_u32_e32 v14, v11, v12
	s_mov_b64 s[22:23], 0
	s_branch .LBB3_26
.LBB3_25:                               ;   in Loop: Header=BB3_26 Depth=3
	v_ashrrev_i32_e32 v13, 31, v12
	v_lshl_add_u64 v[12:13], v[12:13], 2, s[40:41]
	global_load_dword v12, v[12:13], off
	v_add_u32_e32 v1, 4, v1
	v_cmp_le_i32_e32 vcc, s27, v1
	s_or_b64 s[22:23], vcc, s[22:23]
	s_waitcnt vmcnt(0)
	ds_write_b32 v14, v12
	v_add_u32_e32 v14, 0x110, v14
	s_andn2_b64 exec, exec, s[22:23]
	s_cbranch_execz .LBB3_15
.LBB3_26:                               ;   Parent Loop BB3_13 Depth=1
                                        ;     Parent Loop BB3_16 Depth=2
                                        ; =>    This Inner Loop Header: Depth=3
	s_mov_b64 s[24:25], -1
	s_and_b64 vcc, exec, s[58:59]
                                        ; implicit-def: $vgpr12
	s_cbranch_vccz .LBB3_28
; %bb.27:                               ;   in Loop: Header=BB3_26 Depth=3
	v_add_u32_e32 v12, s64, v1
	v_mad_u64_u32 v[12:13], s[24:25], v12, s27, v[10:11]
	s_mov_b64 s[24:25], 0
.LBB3_28:                               ;   in Loop: Header=BB3_26 Depth=3
	s_andn2_b64 vcc, exec, s[24:25]
	s_cbranch_vccnz .LBB3_25
; %bb.29:                               ;   in Loop: Header=BB3_26 Depth=3
	v_add_u32_e32 v12, v35, v1
	s_branch .LBB3_25
.LBB3_30:                               ;   in Loop: Header=BB3_13 Depth=1
	s_or_b64 exec, exec, s[16:17]
	s_sub_i32 s16, s57, s26
	s_ashr_i32 s17, s16, 31
	s_lshl_b64 s[18:19], s[16:17], 2
	s_add_u32 s16, s42, s18
	s_addc_u32 s17, s43, s19
	global_load_dword v1, v32, s[16:17]
	s_waitcnt vmcnt(0)
	v_cmp_eq_u32_e32 vcc, -1, v1
	v_readfirstlane_b32 s57, v1
	v_cmp_ne_u32_e64 s[16:17], -1, v1
	s_cbranch_vccnz .LBB3_11
; %bb.31:                               ;   in Loop: Header=BB3_13 Depth=1
	s_add_u32 s20, s36, s18
	s_addc_u32 s21, s37, s19
	global_load_dword v1, v32, s[20:21] offset:4
	s_add_u32 s18, s28, s18
	s_addc_u32 s19, s29, s19
	s_waitcnt vmcnt(0)
	v_readfirstlane_b32 s75, v1
.LBB3_32:                               ;   Parent Loop BB3_13 Depth=1
                                        ; =>  This Inner Loop Header: Depth=2
	global_load_dword v1, v32, s[18:19] sc1
	s_waitcnt vmcnt(0)
	v_cmp_eq_u32_e32 vcc, 0, v1
	s_cbranch_vccnz .LBB3_32
; %bb.33:                               ;   in Loop: Header=BB3_13 Depth=1
	s_waitcnt lgkmcnt(0)
	buffer_inv sc1
	s_and_saveexec_b64 s[18:19], s[0:1]
	s_cbranch_execz .LBB3_50
; %bb.34:                               ;   in Loop: Header=BB3_13 Depth=1
	s_mul_i32 s66, s57, s27
	v_add_u32_e32 v1, s66, v18
	s_mov_b32 s67, s66
	v_mul_lo_u32 v11, s27, v1
	s_mov_b64 s[20:21], 0
	v_mov_b32_e32 v35, v21
	v_mov_b32_e32 v36, v27
	;; [unrolled: 1-line block ×3, first 2 shown]
	s_branch .LBB3_36
.LBB3_35:                               ;   in Loop: Header=BB3_36 Depth=2
	s_or_b64 exec, exec, s[22:23]
	v_add_u32_e32 v10, 16, v10
	v_cmp_le_i32_e32 vcc, s27, v10
	v_add_u32_e32 v36, 64, v36
	v_add_u32_e32 v11, s73, v11
	s_or_b64 s[20:21], vcc, s[20:21]
	v_add_u32_e32 v35, 64, v35
	s_andn2_b64 exec, exec, s[20:21]
	s_cbranch_execz .LBB3_50
.LBB3_36:                               ;   Parent Loop BB3_13 Depth=1
                                        ; =>  This Loop Header: Depth=2
                                        ;       Child Loop BB3_39 Depth 3
                                        ;       Child Loop BB3_46 Depth 3
	s_and_saveexec_b64 s[22:23], s[4:5]
	s_cbranch_execz .LBB3_35
; %bb.37:                               ;   in Loop: Header=BB3_36 Depth=2
	s_mov_b64 s[62:63], -1
	v_mov_b32_e32 v1, v4
	v_mov_b32_e32 v12, v26
	s_and_saveexec_b64 s[24:25], s[12:13]
	s_cbranch_execz .LBB3_43
; %bb.38:                               ;   in Loop: Header=BB3_36 Depth=2
	v_add_u32_e32 v1, s66, v10
	v_mul_lo_u32 v12, v1, s27
	v_mov_b32_e32 v1, v12
	s_mov_b64 s[62:63], 0
	v_mov_b32_e32 v13, v22
	v_mov_b32_e32 v37, v36
	v_mov_b64_e32 v[14:15], v[4:5]
.LBB3_39:                               ;   Parent Loop BB3_13 Depth=1
                                        ;     Parent Loop BB3_36 Depth=2
                                        ; =>    This Inner Loop Header: Depth=3
	v_add_u32_e32 v40, s66, v14
	v_add_u32_e32 v38, s67, v15
	;; [unrolled: 1-line block ×4, first 2 shown]
	v_mad_u64_u32 v[38:39], s[64:65], v38, s51, v[10:11]
	v_mad_u64_u32 v[40:41], s[64:65], v40, s27, v[10:11]
	v_cndmask_b32_e64 v40, v40, v43, s[6:7]
	v_cndmask_b32_e64 v38, v38, v42, s[6:7]
	v_ashrrev_i32_e32 v39, 31, v38
	v_ashrrev_i32_e32 v41, 31, v40
	v_lshl_add_u64 v[40:41], v[40:41], 2, s[40:41]
	v_lshl_add_u64 v[38:39], v[38:39], 2, s[40:41]
	global_load_dword v40, v[40:41], off
	s_nop 0
	global_load_dword v38, v[38:39], off
	v_add_u32_e32 v13, -2, v13
	v_cmp_eq_u32_e32 vcc, 0, v13
	v_add_u32_e32 v15, 8, v15
	v_add_u32_e32 v14, 8, v14
	s_or_b64 s[62:63], vcc, s[62:63]
	s_waitcnt vmcnt(0)
	ds_write2_b32 v37, v40, v38 offset1:68
	v_add_u32_e32 v37, 0x220, v37
	s_andn2_b64 exec, exec, s[62:63]
	s_cbranch_execnz .LBB3_39
; %bb.40:                               ;   in Loop: Header=BB3_36 Depth=2
	s_or_b64 exec, exec, s[62:63]
	s_mov_b64 s[62:63], 0
                                        ; implicit-def: $vgpr12
	s_and_saveexec_b64 s[64:65], s[14:15]
; %bb.41:                               ;   in Loop: Header=BB3_36 Depth=2
	s_mov_b64 s[62:63], exec
	v_mul_lo_u32 v12, v23, s53
; %bb.42:                               ;   in Loop: Header=BB3_36 Depth=2
	s_or_b64 exec, exec, s[64:65]
	s_orn2_b64 s[62:63], s[62:63], exec
	v_mov_b32_e32 v1, v23
.LBB3_43:                               ;   in Loop: Header=BB3_36 Depth=2
	s_or_b64 exec, exec, s[24:25]
	s_and_b64 exec, exec, s[62:63]
	s_cbranch_execz .LBB3_35
; %bb.44:                               ;   in Loop: Header=BB3_36 Depth=2
	v_add_u32_e32 v14, v35, v12
	s_mov_b64 s[24:25], 0
	s_branch .LBB3_46
.LBB3_45:                               ;   in Loop: Header=BB3_46 Depth=3
	v_ashrrev_i32_e32 v13, 31, v12
	v_lshl_add_u64 v[12:13], v[12:13], 2, s[40:41]
	global_load_dword v12, v[12:13], off
	v_add_u32_e32 v1, 4, v1
	v_cmp_le_i32_e32 vcc, s27, v1
	s_or_b64 s[24:25], vcc, s[24:25]
	s_waitcnt vmcnt(0)
	ds_write_b32 v14, v12
	v_add_u32_e32 v14, 0x110, v14
	s_andn2_b64 exec, exec, s[24:25]
	s_cbranch_execz .LBB3_35
.LBB3_46:                               ;   Parent Loop BB3_13 Depth=1
                                        ;     Parent Loop BB3_36 Depth=2
                                        ; =>    This Inner Loop Header: Depth=3
	s_mov_b64 s[62:63], -1
	s_and_b64 vcc, exec, s[58:59]
                                        ; implicit-def: $vgpr12
	s_cbranch_vccz .LBB3_48
; %bb.47:                               ;   in Loop: Header=BB3_46 Depth=3
	v_add_u32_e32 v12, s66, v1
	v_mad_u64_u32 v[12:13], s[62:63], v12, s27, v[10:11]
	s_mov_b64 s[62:63], 0
.LBB3_48:                               ;   in Loop: Header=BB3_46 Depth=3
	s_andn2_b64 vcc, exec, s[62:63]
	s_cbranch_vccnz .LBB3_45
; %bb.49:                               ;   in Loop: Header=BB3_46 Depth=3
	v_add_u32_e32 v12, v11, v1
	s_branch .LBB3_45
.LBB3_50:                               ;   in Loop: Header=BB3_13 Depth=1
	s_or_b64 exec, exec, s[18:19]
	s_andn2_b64 vcc, exec, s[60:61]
	s_waitcnt lgkmcnt(0)
	s_cbranch_vccnz .LBB3_66
; %bb.51:                               ;   in Loop: Header=BB3_13 Depth=1
	s_mov_b32 s76, 0
	v_mov_b32_e32 v1, v20
	v_mov_b32_e32 v12, v7
	;; [unrolled: 1-line block ×4, first 2 shown]
	s_mov_b32 s77, 0
	s_branch .LBB3_53
.LBB3_52:                               ;   in Loop: Header=BB3_53 Depth=2
	s_or_b64 exec, exec, s[62:63]
	s_add_i32 s77, s77, 1
	s_add_i32 s76, s76, 4
	v_add_u32_e32 v14, 0x44, v14
	v_add_u32_e32 v13, 0x48, v13
	;; [unrolled: 1-line block ×3, first 2 shown]
	s_cmp_eq_u32 s77, s27
	v_add_u32_e32 v1, -1, v1
	s_waitcnt lgkmcnt(0)
	s_cbranch_scc1 .LBB3_66
.LBB3_53:                               ;   Parent Loop BB3_13 Depth=1
                                        ; =>  This Loop Header: Depth=2
                                        ;       Child Loop BB3_56 Depth 3
                                        ;         Child Loop BB3_61 Depth 4
                                        ;         Child Loop BB3_65 Depth 4
	s_and_saveexec_b64 s[62:63], s[0:1]
	s_cbranch_execz .LBB3_52
; %bb.54:                               ;   in Loop: Header=BB3_53 Depth=2
	v_max_i32_e32 v10, s27, v12
	v_add_u32_e32 v10, v10, v1
	v_lshrrev_b32_e32 v10, 2, v10
	v_add_u32_e32 v10, 1, v10
	s_mul_i32 s20, s77, 0x44
	s_lshl_b32 s18, s77, 2
	v_and_b32_e32 v15, 0x7ffffffc, v10
	v_add_u32_e32 v10, s77, v7
	s_add_i32 s18, s20, s18
	v_max_i32_e32 v10, s27, v10
	v_subrev_u32_e32 v11, s77, v20
	v_mov_b32_e32 v35, s18
	v_add_u32_e32 v10, v10, v11
	ds_read_b32 v35, v35
	v_lshrrev_b32_e32 v11, 2, v10
	v_add_u32_e32 v40, 1, v11
	s_add_i32 s78, s20, 0x440
	v_add_u32_e32 v37, s20, v25
	v_cmp_gt_u32_e64 s[20:21], s53, v10
	v_mul_hi_u32 v10, v11, s74
	v_add_u32_e32 v36, s77, v19
	v_cmp_ne_u32_e64 s[22:23], 0, v10
	v_and_b32_e32 v10, 0x7ffffffc, v40
	v_cmp_gt_i32_e64 s[18:19], s27, v36
	v_mul_lo_u32 v38, v11, s74
	s_mov_b32 s79, 0
	v_lshl_add_u32 v39, v10, 2, v36
	v_cmp_ne_u32_e64 s[24:25], v40, v10
	s_mov_b64 s[64:65], 0
	v_mov_b32_e32 v40, v24
	v_mov_b32_e32 v41, v14
	;; [unrolled: 1-line block ×3, first 2 shown]
	s_branch .LBB3_56
.LBB3_55:                               ;   in Loop: Header=BB3_56 Depth=3
	s_or_b64 exec, exec, s[66:67]
	v_add_u32_e32 v42, 16, v42
	s_add_i32 s79, s79, 1
	v_cmp_le_i32_e32 vcc, s27, v42
	v_add_u32_e32 v41, 64, v41
	s_or_b64 s[64:65], vcc, s[64:65]
	v_add_u32_e32 v40, 64, v40
	s_andn2_b64 exec, exec, s[64:65]
	s_cbranch_execz .LBB3_52
.LBB3_56:                               ;   Parent Loop BB3_13 Depth=1
                                        ;     Parent Loop BB3_53 Depth=2
                                        ; =>    This Loop Header: Depth=3
                                        ;         Child Loop BB3_61 Depth 4
                                        ;         Child Loop BB3_65 Depth 4
	v_lshl_add_u32 v10, v42, 2, s78
	ds_read_b32 v11, v10
	s_waitcnt lgkmcnt(0)
	v_div_scale_f32 v43, s[66:67], v35, v35, v11
	v_rcp_f32_e32 v44, v43
	v_div_scale_f32 v45, vcc, v11, v35, v11
	v_fma_f32 v46, -v43, v44, 1.0
	v_fmac_f32_e32 v44, v46, v44
	v_mul_f32_e32 v46, v45, v44
	v_fma_f32 v47, -v43, v46, v45
	v_fmac_f32_e32 v46, v47, v44
	v_fma_f32 v43, -v43, v46, v45
	v_div_fmas_f32 v43, v43, v44, v46
	v_div_fixup_f32 v43, v43, v35, v11
	s_and_saveexec_b64 s[66:67], s[8:9]
; %bb.57:                               ;   in Loop: Header=BB3_56 Depth=3
	ds_write_b32 v10, v43
; %bb.58:                               ;   in Loop: Header=BB3_56 Depth=3
	s_or_b64 exec, exec, s[66:67]
	s_and_saveexec_b64 s[66:67], s[18:19]
	s_cbranch_execz .LBB3_55
; %bb.59:                               ;   in Loop: Header=BB3_56 Depth=3
	v_lshl_add_u32 v10, s79, 6, v37
	v_add_u32_e32 v10, 0x44, v10
	v_add_u32_e32 v11, v10, v38
	v_cmp_lt_u32_e32 vcc, v11, v10
	s_or_b64 s[68:69], vcc, s[22:23]
	s_nor_b64 s[80:81], s[20:21], s[68:69]
	s_mov_b64 s[70:71], -1
	v_mov_b32_e32 v10, v36
	s_and_saveexec_b64 s[68:69], s[80:81]
	s_cbranch_execz .LBB3_63
; %bb.60:                               ;   in Loop: Header=BB3_56 Depth=3
	v_xor_b32_e32 v10, 0x80000000, v43
	v_mov_b32_e32 v11, v10
	s_mov_b64 s[70:71], 0
	v_mov_b32_e32 v44, v15
	v_mov_b32_e32 v45, v13
	;; [unrolled: 1-line block ×3, first 2 shown]
.LBB3_61:                               ;   Parent Loop BB3_13 Depth=1
                                        ;     Parent Loop BB3_53 Depth=2
                                        ;       Parent Loop BB3_56 Depth=3
                                        ; =>      This Inner Loop Header: Depth=4
	ds_read2_b32 v[48:49], v45 offset1:68
	ds_read2_b32 v[50:51], v45 offset0:136 offset1:204
	ds_read2_b32 v[52:53], v46 offset1:68
	ds_read2_b32 v[54:55], v46 offset0:136 offset1:204
	v_add_u32_e32 v44, -4, v44
	v_cmp_eq_u32_e32 vcc, 0, v44
	s_or_b64 s[70:71], vcc, s[70:71]
	s_waitcnt lgkmcnt(1)
	v_pk_fma_f32 v[48:49], v[10:11], v[48:49], v[52:53]
	s_waitcnt lgkmcnt(0)
	v_pk_fma_f32 v[50:51], v[10:11], v[50:51], v[54:55]
	ds_write2_b32 v46, v48, v49 offset1:68
	ds_write2_b32 v46, v50, v51 offset0:136 offset1:204
	v_add_u32_e32 v46, 0x440, v46
	v_add_u32_e32 v45, 0x440, v45
	s_andn2_b64 exec, exec, s[70:71]
	s_cbranch_execnz .LBB3_61
; %bb.62:                               ;   in Loop: Header=BB3_56 Depth=3
	s_or_b64 exec, exec, s[70:71]
	s_orn2_b64 s[70:71], s[24:25], exec
	v_mov_b32_e32 v10, v39
.LBB3_63:                               ;   in Loop: Header=BB3_56 Depth=3
	s_or_b64 exec, exec, s[68:69]
	s_and_b64 exec, exec, s[70:71]
	s_cbranch_execz .LBB3_55
; %bb.64:                               ;   in Loop: Header=BB3_56 Depth=3
	v_mul_lo_u32 v44, v10, s53
	v_add_u32_e32 v11, v40, v44
	v_add_u32_e32 v44, s76, v44
	s_mov_b64 s[68:69], 0
.LBB3_65:                               ;   Parent Loop BB3_13 Depth=1
                                        ;     Parent Loop BB3_53 Depth=2
                                        ;       Parent Loop BB3_56 Depth=3
                                        ; =>      This Inner Loop Header: Depth=4
	ds_read_b32 v45, v44
	ds_read_b32 v46, v11
	v_add_u32_e32 v10, 4, v10
	v_cmp_le_i32_e32 vcc, s27, v10
	s_or_b64 s[68:69], vcc, s[68:69]
	v_add_u32_e32 v44, 0x110, v44
	s_waitcnt lgkmcnt(0)
	v_fma_f32 v45, -v43, v45, v46
	ds_write_b32 v11, v45
	v_add_u32_e32 v11, 0x110, v11
	s_andn2_b64 exec, exec, s[68:69]
	s_cbranch_execnz .LBB3_65
	s_branch .LBB3_55
.LBB3_66:                               ;   in Loop: Header=BB3_13 Depth=1
	s_and_saveexec_b64 s[18:19], s[0:1]
	s_cbranch_execz .LBB3_83
; %bb.67:                               ;   in Loop: Header=BB3_13 Depth=1
	s_mul_i32 s66, s56, s27
	s_mov_b32 s67, s66
	s_mov_b64 s[20:21], 0
	v_mov_b32_e32 v11, v24
	v_mov_b32_e32 v35, v29
	v_mov_b32_e32 v36, v28
	v_mov_b32_e32 v10, v18
	s_branch .LBB3_69
.LBB3_68:                               ;   in Loop: Header=BB3_69 Depth=2
	s_or_b64 exec, exec, s[22:23]
	v_add_u32_e32 v10, 16, v10
	v_cmp_le_i32_e32 vcc, s27, v10
	v_add_u32_e32 v36, 64, v36
	v_add_u32_e32 v35, s73, v35
	s_or_b64 s[20:21], vcc, s[20:21]
	v_add_u32_e32 v11, 64, v11
	s_andn2_b64 exec, exec, s[20:21]
	s_cbranch_execz .LBB3_83
.LBB3_69:                               ;   Parent Loop BB3_13 Depth=1
                                        ; =>  This Loop Header: Depth=2
                                        ;       Child Loop BB3_72 Depth 3
                                        ;       Child Loop BB3_79 Depth 3
	s_and_saveexec_b64 s[22:23], s[4:5]
	s_cbranch_execz .LBB3_68
; %bb.70:                               ;   in Loop: Header=BB3_69 Depth=2
	s_mov_b64 s[62:63], -1
	v_mov_b32_e32 v1, v4
	v_mov_b32_e32 v12, v26
	s_and_saveexec_b64 s[24:25], s[12:13]
	s_cbranch_execz .LBB3_76
; %bb.71:                               ;   in Loop: Header=BB3_69 Depth=2
	v_add_u32_e32 v1, s66, v10
	v_mul_lo_u32 v12, v1, s27
	v_mov_b32_e32 v1, v12
	s_mov_b64 s[62:63], 0
	v_mov_b32_e32 v13, v22
	v_mov_b32_e32 v37, v36
	v_mov_b64_e32 v[14:15], v[4:5]
.LBB3_72:                               ;   Parent Loop BB3_13 Depth=1
                                        ;     Parent Loop BB3_69 Depth=2
                                        ; =>    This Inner Loop Header: Depth=3
	ds_read2_b32 v[38:39], v37 offset1:68
	v_add_u32_e32 v42, s66, v14
	v_add_u32_e32 v40, s67, v15
	;; [unrolled: 1-line block ×3, first 2 shown]
	v_mad_u64_u32 v[42:43], s[64:65], v42, s27, v[10:11]
	v_add_u32_e32 v44, v15, v1
	v_add_u32_e32 v13, -2, v13
	v_mad_u64_u32 v[40:41], s[64:65], v40, s51, v[10:11]
	v_cndmask_b32_e64 v42, v42, v45, s[6:7]
	v_cmp_eq_u32_e32 vcc, 0, v13
	v_cndmask_b32_e64 v40, v40, v44, s[6:7]
	v_ashrrev_i32_e32 v43, 31, v42
	v_add_u32_e32 v15, 8, v15
	v_add_u32_e32 v14, 8, v14
	;; [unrolled: 1-line block ×3, first 2 shown]
	s_or_b64 s[62:63], vcc, s[62:63]
	v_ashrrev_i32_e32 v41, 31, v40
	v_lshl_add_u64 v[42:43], v[42:43], 2, s[40:41]
	v_lshl_add_u64 v[40:41], v[40:41], 2, s[40:41]
	s_waitcnt lgkmcnt(0)
	global_store_dword v[42:43], v38, off
	global_store_dword v[40:41], v39, off
	s_andn2_b64 exec, exec, s[62:63]
	s_cbranch_execnz .LBB3_72
; %bb.73:                               ;   in Loop: Header=BB3_69 Depth=2
	s_or_b64 exec, exec, s[62:63]
	s_mov_b64 s[62:63], 0
                                        ; implicit-def: $vgpr12
	s_and_saveexec_b64 s[64:65], s[14:15]
; %bb.74:                               ;   in Loop: Header=BB3_69 Depth=2
	s_mov_b64 s[62:63], exec
	v_mul_lo_u32 v12, v23, s53
; %bb.75:                               ;   in Loop: Header=BB3_69 Depth=2
	s_or_b64 exec, exec, s[64:65]
	s_orn2_b64 s[62:63], s[62:63], exec
	v_mov_b32_e32 v1, v23
.LBB3_76:                               ;   in Loop: Header=BB3_69 Depth=2
	s_or_b64 exec, exec, s[24:25]
	s_and_b64 exec, exec, s[62:63]
	s_cbranch_execz .LBB3_68
; %bb.77:                               ;   in Loop: Header=BB3_69 Depth=2
	v_add_u32_e32 v14, v11, v12
	s_mov_b64 s[24:25], 0
	s_branch .LBB3_79
.LBB3_78:                               ;   in Loop: Header=BB3_79 Depth=3
	v_add_u32_e32 v1, 4, v1
	v_ashrrev_i32_e32 v13, 31, v12
	v_cmp_le_i32_e32 vcc, s27, v1
	v_lshl_add_u64 v[12:13], v[12:13], 2, s[40:41]
	s_or_b64 s[24:25], vcc, s[24:25]
	v_add_u32_e32 v14, 0x110, v14
	s_waitcnt lgkmcnt(0)
	global_store_dword v[12:13], v15, off
	s_andn2_b64 exec, exec, s[24:25]
	s_cbranch_execz .LBB3_68
.LBB3_79:                               ;   Parent Loop BB3_13 Depth=1
                                        ;     Parent Loop BB3_69 Depth=2
                                        ; =>    This Inner Loop Header: Depth=3
	ds_read_b32 v15, v14
	s_mov_b64 s[62:63], -1
	s_and_b64 vcc, exec, s[58:59]
                                        ; implicit-def: $vgpr12
	s_cbranch_vccz .LBB3_81
; %bb.80:                               ;   in Loop: Header=BB3_79 Depth=3
	v_add_u32_e32 v12, s66, v1
	v_mad_u64_u32 v[12:13], s[62:63], v12, s27, v[10:11]
	s_mov_b64 s[62:63], 0
.LBB3_81:                               ;   in Loop: Header=BB3_79 Depth=3
	s_andn2_b64 vcc, exec, s[62:63]
	s_cbranch_vccnz .LBB3_78
; %bb.82:                               ;   in Loop: Header=BB3_79 Depth=3
	v_add_u32_e32 v12, v35, v1
	s_branch .LBB3_78
.LBB3_83:                               ;   in Loop: Header=BB3_13 Depth=1
	s_or_b64 exec, exec, s[18:19]
	s_sub_i32 s68, s75, s26
	s_add_i32 s18, s57, 1
	s_cmp_ge_i32 s18, s68
	s_cbranch_scc1 .LBB3_12
; %bb.84:                               ;   in Loop: Header=BB3_13 Depth=1
	s_mul_i32 s19, s27, s18
	v_add_u32_e32 v1, s19, v18
	v_mul_lo_u32 v35, s27, v1
	s_branch .LBB3_88
.LBB3_85:                               ;   in Loop: Header=BB3_88 Depth=2
	s_or_b64 exec, exec, s[22:23]
.LBB3_86:                               ;   in Loop: Header=BB3_88 Depth=2
	s_or_b64 exec, exec, s[20:21]
.LBB3_87:                               ;   in Loop: Header=BB3_88 Depth=2
	s_add_i32 s18, s18, 1
	s_cmp_lt_i32 s18, s68
	v_add_u32_e32 v35, s72, v35
	s_waitcnt lgkmcnt(0)
	s_cbranch_scc0 .LBB3_12
.LBB3_88:                               ;   Parent Loop BB3_13 Depth=1
                                        ; =>  This Loop Header: Depth=2
                                        ;       Child Loop BB3_93 Depth 3
                                        ;       Child Loop BB3_102 Depth 3
                                        ;         Child Loop BB3_105 Depth 4
                                        ;         Child Loop BB3_112 Depth 4
                                        ;       Child Loop BB3_118 Depth 3
                                        ;         Child Loop BB3_121 Depth 4
                                        ;           Child Loop BB3_122 Depth 5
	s_ashr_i32 s19, s18, 31
	s_lshl_b64 s[20:21], s[18:19], 2
	s_add_u32 s20, s38, s20
	s_addc_u32 s21, s39, s21
	global_load_dword v1, v32, s[20:21]
	v_mov_b32_e32 v11, s33
	s_and_saveexec_b64 s[20:21], s[10:11]
	s_cbranch_execz .LBB3_90
; %bb.89:                               ;   in Loop: Header=BB3_88 Depth=2
	global_load_dword v10, v[8:9], off
	s_waitcnt vmcnt(0)
	v_subrev_u32_e32 v11, s26, v10
.LBB3_90:                               ;   in Loop: Header=BB3_88 Depth=2
	s_or_b64 exec, exec, s[20:21]
	s_waitcnt vmcnt(0)
	v_subrev_u32_e32 v1, s26, v1
	v_cmp_lt_i32_e32 vcc, v11, v1
	v_mov_b32_e32 v12, v6
	s_and_saveexec_b64 s[20:21], vcc
	s_cbranch_execz .LBB3_96
; %bb.91:                               ;   in Loop: Header=BB3_88 Depth=2
	s_mov_b64 s[22:23], 0
	v_mov_b32_e32 v10, v6
	s_branch .LBB3_93
.LBB3_92:                               ;   in Loop: Header=BB3_93 Depth=3
	s_or_b64 exec, exec, s[24:25]
	v_cmp_ge_i32_e32 vcc, v11, v1
	s_or_b64 s[22:23], vcc, s[22:23]
	v_mov_b32_e32 v10, v12
	s_andn2_b64 exec, exec, s[22:23]
	s_cbranch_execz .LBB3_95
.LBB3_93:                               ;   Parent Loop BB3_13 Depth=1
                                        ;     Parent Loop BB3_88 Depth=2
                                        ; =>    This Inner Loop Header: Depth=3
	v_add_u32_e32 v12, 64, v10
	v_cmp_gt_i32_e32 vcc, s31, v12
	v_mov_b32_e32 v11, s33
	s_and_saveexec_b64 s[24:25], vcc
	s_cbranch_execz .LBB3_92
; %bb.94:                               ;   in Loop: Header=BB3_93 Depth=3
	v_ashrrev_i32_e32 v11, 31, v10
	v_lshl_add_u64 v[10:11], v[10:11], 2, s[38:39]
	global_load_dword v10, v[10:11], off offset:256
	s_waitcnt vmcnt(0)
	v_subrev_u32_e32 v11, s26, v10
	s_branch .LBB3_92
.LBB3_95:                               ;   in Loop: Header=BB3_88 Depth=2
	s_or_b64 exec, exec, s[22:23]
.LBB3_96:                               ;   in Loop: Header=BB3_88 Depth=2
	s_or_b64 exec, exec, s[20:21]
	v_cmp_eq_u32_e32 vcc, v11, v1
	s_cbranch_vccz .LBB3_87
; %bb.97:                               ;   in Loop: Header=BB3_88 Depth=2
	s_ff1_i32_b64 s19, vcc
	v_and_or_b32 v1, v34, 64, s19
	v_lshlrev_b32_e32 v1, 2, v1
	ds_bpermute_b32 v11, v1, v12
	s_and_saveexec_b64 s[20:21], s[2:3]
	s_xor_b64 s[20:21], exec, s[20:21]
	s_cbranch_execz .LBB3_99
; %bb.98:                               ;   in Loop: Header=BB3_88 Depth=2
	s_waitcnt lgkmcnt(0)
                                        ; implicit-def: $vgpr11
.LBB3_99:                               ;   in Loop: Header=BB3_88 Depth=2
	s_andn2_saveexec_b64 s[20:21], s[20:21]
	s_cbranch_execz .LBB3_86
; %bb.100:                              ;   in Loop: Header=BB3_88 Depth=2
	s_mul_i32 s19, s18, s27
	s_mov_b32 s57, s19
	s_mov_b64 s[22:23], 0
	v_mov_b32_e32 v36, v21
	v_mov_b32_e32 v37, v35
	;; [unrolled: 1-line block ×4, first 2 shown]
	s_branch .LBB3_102
.LBB3_101:                              ;   in Loop: Header=BB3_102 Depth=3
	s_or_b64 exec, exec, s[24:25]
	v_add_u32_e32 v10, 16, v10
	v_cmp_le_i32_e32 vcc, s27, v10
	v_add_u32_e32 v38, 64, v38
	v_add_u32_e32 v37, s73, v37
	s_or_b64 s[22:23], vcc, s[22:23]
	v_add_u32_e32 v36, 64, v36
	s_andn2_b64 exec, exec, s[22:23]
	s_cbranch_execz .LBB3_116
.LBB3_102:                              ;   Parent Loop BB3_13 Depth=1
                                        ;     Parent Loop BB3_88 Depth=2
                                        ; =>    This Loop Header: Depth=3
                                        ;         Child Loop BB3_105 Depth 4
                                        ;         Child Loop BB3_112 Depth 4
	s_and_saveexec_b64 s[24:25], s[4:5]
	s_cbranch_execz .LBB3_101
; %bb.103:                              ;   in Loop: Header=BB3_102 Depth=3
	s_mov_b64 s[64:65], -1
	v_mov_b32_e32 v1, v4
	v_mov_b32_e32 v12, v26
	s_and_saveexec_b64 s[62:63], s[12:13]
	s_cbranch_execz .LBB3_109
; %bb.104:                              ;   in Loop: Header=BB3_102 Depth=3
	v_add_u32_e32 v1, s19, v10
	v_mul_lo_u32 v12, v1, s27
	v_mov_b32_e32 v1, v12
	s_mov_b64 s[64:65], 0
	v_mov_b32_e32 v13, v22
	v_mov_b32_e32 v39, v38
	v_mov_b64_e32 v[14:15], v[4:5]
.LBB3_105:                              ;   Parent Loop BB3_13 Depth=1
                                        ;     Parent Loop BB3_88 Depth=2
                                        ;       Parent Loop BB3_102 Depth=3
                                        ; =>      This Inner Loop Header: Depth=4
	v_add_u32_e32 v42, s19, v14
	v_add_u32_e32 v40, s57, v15
	;; [unrolled: 1-line block ×4, first 2 shown]
	s_waitcnt lgkmcnt(0)
	v_mad_u64_u32 v[40:41], s[66:67], v40, s51, v[10:11]
	v_mad_u64_u32 v[42:43], s[66:67], v42, s27, v[10:11]
	v_cndmask_b32_e64 v42, v42, v45, s[6:7]
	v_cndmask_b32_e64 v40, v40, v44, s[6:7]
	v_ashrrev_i32_e32 v41, 31, v40
	v_ashrrev_i32_e32 v43, 31, v42
	v_lshl_add_u64 v[42:43], v[42:43], 2, s[40:41]
	v_lshl_add_u64 v[40:41], v[40:41], 2, s[40:41]
	global_load_dword v42, v[42:43], off
	s_nop 0
	global_load_dword v40, v[40:41], off
	v_add_u32_e32 v13, -2, v13
	v_cmp_eq_u32_e32 vcc, 0, v13
	v_add_u32_e32 v15, 8, v15
	v_add_u32_e32 v14, 8, v14
	s_or_b64 s[64:65], vcc, s[64:65]
	s_waitcnt vmcnt(0)
	ds_write2_b32 v39, v42, v40 offset1:68
	v_add_u32_e32 v39, 0x220, v39
	s_andn2_b64 exec, exec, s[64:65]
	s_cbranch_execnz .LBB3_105
; %bb.106:                              ;   in Loop: Header=BB3_102 Depth=3
	s_or_b64 exec, exec, s[64:65]
	s_mov_b64 s[64:65], 0
                                        ; implicit-def: $vgpr12
	s_and_saveexec_b64 s[66:67], s[14:15]
; %bb.107:                              ;   in Loop: Header=BB3_102 Depth=3
	s_mov_b64 s[64:65], exec
	v_mul_lo_u32 v12, v23, s53
; %bb.108:                              ;   in Loop: Header=BB3_102 Depth=3
	s_or_b64 exec, exec, s[66:67]
	s_orn2_b64 s[64:65], s[64:65], exec
	v_mov_b32_e32 v1, v23
.LBB3_109:                              ;   in Loop: Header=BB3_102 Depth=3
	s_or_b64 exec, exec, s[62:63]
	s_and_b64 exec, exec, s[64:65]
	s_cbranch_execz .LBB3_101
; %bb.110:                              ;   in Loop: Header=BB3_102 Depth=3
	v_add_u32_e32 v14, v36, v12
	s_mov_b64 s[62:63], 0
	s_branch .LBB3_112
.LBB3_111:                              ;   in Loop: Header=BB3_112 Depth=4
	v_ashrrev_i32_e32 v13, 31, v12
	v_lshl_add_u64 v[12:13], v[12:13], 2, s[40:41]
	global_load_dword v12, v[12:13], off
	v_add_u32_e32 v1, 4, v1
	v_cmp_le_i32_e32 vcc, s27, v1
	s_or_b64 s[62:63], vcc, s[62:63]
	s_waitcnt vmcnt(0)
	ds_write_b32 v14, v12
	v_add_u32_e32 v14, 0x110, v14
	s_andn2_b64 exec, exec, s[62:63]
	s_cbranch_execz .LBB3_101
.LBB3_112:                              ;   Parent Loop BB3_13 Depth=1
                                        ;     Parent Loop BB3_88 Depth=2
                                        ;       Parent Loop BB3_102 Depth=3
                                        ; =>      This Inner Loop Header: Depth=4
	s_mov_b64 s[64:65], -1
	s_and_b64 vcc, exec, s[58:59]
                                        ; implicit-def: $vgpr12
	s_cbranch_vccz .LBB3_114
; %bb.113:                              ;   in Loop: Header=BB3_112 Depth=4
	v_add_u32_e32 v12, s19, v1
	s_waitcnt lgkmcnt(0)
	v_mad_u64_u32 v[12:13], s[64:65], v12, s27, v[10:11]
	s_mov_b64 s[64:65], 0
.LBB3_114:                              ;   in Loop: Header=BB3_112 Depth=4
	s_andn2_b64 vcc, exec, s[64:65]
	s_cbranch_vccnz .LBB3_111
; %bb.115:                              ;   in Loop: Header=BB3_112 Depth=4
	v_add_u32_e32 v12, v37, v1
	s_branch .LBB3_111
.LBB3_116:                              ;   in Loop: Header=BB3_88 Depth=2
	s_or_b64 exec, exec, s[22:23]
	s_waitcnt lgkmcnt(0)
	v_mul_lo_u32 v1, v11, s27
	s_mov_b64 s[22:23], 0
	v_mov_b32_e32 v11, v24
	v_mov_b32_e32 v10, v18
	s_branch .LBB3_118
.LBB3_117:                              ;   in Loop: Header=BB3_118 Depth=3
	s_or_b64 exec, exec, s[24:25]
	v_add_u32_e32 v10, 16, v10
	v_cmp_le_i32_e32 vcc, s27, v10
	s_or_b64 s[22:23], vcc, s[22:23]
	v_add_u32_e32 v11, 64, v11
	s_andn2_b64 exec, exec, s[22:23]
	s_cbranch_execz .LBB3_85
.LBB3_118:                              ;   Parent Loop BB3_13 Depth=1
                                        ;     Parent Loop BB3_88 Depth=2
                                        ; =>    This Loop Header: Depth=3
                                        ;         Child Loop BB3_121 Depth 4
                                        ;           Child Loop BB3_122 Depth 5
	s_and_saveexec_b64 s[24:25], s[4:5]
	s_cbranch_execz .LBB3_117
; %bb.119:                              ;   in Loop: Header=BB3_118 Depth=3
	v_add_u32_e32 v12, v10, v1
	v_mul_lo_u32 v14, v12, s27
	s_mov_b64 s[62:63], 0
	v_mov_b32_e32 v15, v26
	v_mov_b32_e32 v36, v4
	s_branch .LBB3_121
.LBB3_120:                              ;   in Loop: Header=BB3_121 Depth=4
	v_ashrrev_i32_e32 v13, 31, v12
	v_lshl_add_u64 v[12:13], v[12:13], 2, s[40:41]
	global_load_dword v38, v[12:13], off
	v_add_u32_e32 v36, 4, v36
	v_cmp_le_i32_e32 vcc, s27, v36
	s_or_b64 s[62:63], vcc, s[62:63]
	v_add_u32_e32 v15, 0x110, v15
	s_waitcnt vmcnt(0)
	v_sub_f32_e32 v37, v38, v37
	global_store_dword v[12:13], v37, off
	s_andn2_b64 exec, exec, s[62:63]
	s_cbranch_execz .LBB3_117
.LBB3_121:                              ;   Parent Loop BB3_13 Depth=1
                                        ;     Parent Loop BB3_88 Depth=2
                                        ;       Parent Loop BB3_118 Depth=3
                                        ; =>      This Loop Header: Depth=4
                                        ;           Child Loop BB3_122 Depth 5
	v_mov_b32_e32 v37, 0
	v_mov_b32_e32 v12, v11
	;; [unrolled: 1-line block ×3, first 2 shown]
	s_mov_b32 s19, s27
.LBB3_122:                              ;   Parent Loop BB3_13 Depth=1
                                        ;     Parent Loop BB3_88 Depth=2
                                        ;       Parent Loop BB3_118 Depth=3
                                        ;         Parent Loop BB3_121 Depth=4
                                        ; =>        This Inner Loop Header: Depth=5
	ds_read_b32 v38, v12
	ds_read_b32 v39, v13
	s_add_i32 s19, s19, -1
	v_add_u32_e32 v13, 4, v13
	v_add_u32_e32 v12, 0x44, v12
	s_cmp_eq_u32 s19, 0
	s_waitcnt lgkmcnt(0)
	v_fmac_f32_e32 v37, v38, v39
	s_cbranch_scc0 .LBB3_122
; %bb.123:                              ;   in Loop: Header=BB3_121 Depth=4
	s_mov_b64 s[64:65], -1
	s_and_b64 vcc, exec, s[58:59]
                                        ; implicit-def: $vgpr12
	s_cbranch_vccz .LBB3_125
; %bb.124:                              ;   in Loop: Header=BB3_121 Depth=4
	v_add_u32_e32 v12, v36, v1
	v_mad_u64_u32 v[12:13], s[64:65], v12, s27, v[10:11]
	s_mov_b64 s[64:65], 0
.LBB3_125:                              ;   in Loop: Header=BB3_121 Depth=4
	s_andn2_b64 vcc, exec, s[64:65]
	s_cbranch_vccnz .LBB3_120
; %bb.126:                              ;   in Loop: Header=BB3_121 Depth=4
	v_add_u32_e32 v12, v36, v14
	s_branch .LBB3_120
.LBB3_127:
	s_ashr_i32 s51, s50, 31
	s_lshl_b64 s[0:1], s[50:51], 2
	s_add_u32 s0, s38, s0
	s_addc_u32 s1, s39, s1
	v_mov_b32_e32 v1, 0
	global_load_dword v1, v1, s[0:1]
	s_waitcnt vmcnt(0)
	v_subrev_u32_e32 v1, s26, v1
	v_cmp_ne_u32_e32 vcc, s30, v1
	s_cbranch_vccnz .LBB3_186
; %bb.128:
	v_and_b32_e32 v4, 0x3ff, v0
	v_cmp_gt_i32_e64 s[0:1], s27, v4
	v_lshlrev_b32_e32 v5, 2, v4
	s_and_saveexec_b64 s[10:11], s[0:1]
	s_cbranch_execz .LBB3_146
; %bb.129:
	v_bfe_u32 v6, v0, 10, 10
	v_xad_u32 v1, v6, -1, s27
	v_lshrrev_b32_e32 v7, 2, v1
	v_add_u32_e32 v8, 1, v7
	s_cmp_lg_u32 s52, 0
	s_mul_i32 s24, s50, s27
	v_and_b32_e32 v9, 0x7ffffffe, v8
	s_cselect_b64 s[12:13], -1, 0
	s_cmp_eq_u32 s52, 0
	v_cmp_lt_u32_e64 s[6:7], 3, v1
	v_lshl_add_u32 v14, v9, 2, v6
	s_movk_i32 s16, 0x44
	v_lshlrev_b32_e32 v18, 2, v4
	v_add_u32_e32 v1, s24, v4
	v_cmp_gt_u32_e64 s[2:3], s27, v6
	s_cselect_b64 s[4:5], -1, 0
	s_mov_b32 s25, s24
	s_mov_b32 s33, s27
	v_add_u32_e32 v7, 4, v6
	v_cmp_ne_u32_e64 s[8:9], v8, v9
	v_mul_u32_u24_e32 v15, 0x44, v6
	v_mad_u32_u24 v19, v6, s16, v18
	v_mul_lo_u32 v20, s27, v1
	s_lshl_b32 s36, s27, 4
	s_mov_b64 s[14:15], 0
	v_mul_lo_u32 v21, v14, s16
	v_mov_b32_e32 v8, v4
	s_branch .LBB3_131
.LBB3_130:                              ;   in Loop: Header=BB3_131 Depth=1
	s_or_b64 exec, exec, s[16:17]
	v_add_u32_e32 v8, 16, v8
	v_cmp_le_i32_e32 vcc, s27, v8
	v_add_u32_e32 v19, 64, v19
	v_add_u32_e32 v20, s36, v20
	s_or_b64 s[14:15], vcc, s[14:15]
	v_add_u32_e32 v18, 64, v18
	s_andn2_b64 exec, exec, s[14:15]
	s_cbranch_execz .LBB3_146
.LBB3_131:                              ; =>This Loop Header: Depth=1
                                        ;     Child Loop BB3_134 Depth 2
                                        ;     Child Loop BB3_141 Depth 2
	s_and_saveexec_b64 s[16:17], s[2:3]
	s_cbranch_execz .LBB3_130
; %bb.132:                              ;   in Loop: Header=BB3_131 Depth=1
	s_mov_b64 s[20:21], -1
	v_mov_b32_e32 v1, v6
	v_mov_b32_e32 v10, v15
	s_and_saveexec_b64 s[18:19], s[6:7]
	s_cbranch_execz .LBB3_138
; %bb.133:                              ;   in Loop: Header=BB3_131 Depth=1
	v_add_u32_e32 v1, s24, v8
	v_mul_lo_u32 v10, v1, s27
	v_mov_b32_e32 v1, v10
	s_mov_b64 s[20:21], 0
	v_mov_b32_e32 v11, v9
	v_mov_b32_e32 v22, v19
	v_mov_b64_e32 v[12:13], v[6:7]
.LBB3_134:                              ;   Parent Loop BB3_131 Depth=1
                                        ; =>  This Inner Loop Header: Depth=2
	v_add_u32_e32 v23, s24, v12
	v_add_u32_e32 v24, s25, v13
	;; [unrolled: 1-line block ×3, first 2 shown]
	v_mad_u64_u32 v[26:27], s[22:23], v23, s27, v[8:9]
	v_add_u32_e32 v28, v13, v1
	v_mad_u64_u32 v[24:25], s[22:23], v24, s33, v[8:9]
	v_cndmask_b32_e64 v26, v26, v29, s[4:5]
	v_cndmask_b32_e64 v24, v24, v28, s[4:5]
	v_ashrrev_i32_e32 v27, 31, v26
	v_ashrrev_i32_e32 v25, 31, v24
	v_lshl_add_u64 v[26:27], v[26:27], 2, s[40:41]
	v_lshl_add_u64 v[24:25], v[24:25], 2, s[40:41]
	global_load_dword v23, v[26:27], off
	global_load_dword v28, v[24:25], off
	v_add_u32_e32 v11, -2, v11
	v_cmp_eq_u32_e32 vcc, 0, v11
	v_add_u32_e32 v13, 8, v13
	v_add_u32_e32 v12, 8, v12
	s_or_b64 s[20:21], vcc, s[20:21]
	s_waitcnt vmcnt(0)
	ds_write2_b32 v22, v23, v28 offset1:68
	v_add_u32_e32 v22, 0x220, v22
	s_andn2_b64 exec, exec, s[20:21]
	s_cbranch_execnz .LBB3_134
; %bb.135:                              ;   in Loop: Header=BB3_131 Depth=1
	s_or_b64 exec, exec, s[20:21]
	s_mov_b64 s[20:21], 0
	s_and_saveexec_b64 s[22:23], s[8:9]
; %bb.136:                              ;   in Loop: Header=BB3_131 Depth=1
	s_mov_b64 s[20:21], exec
; %bb.137:                              ;   in Loop: Header=BB3_131 Depth=1
	s_or_b64 exec, exec, s[22:23]
	s_orn2_b64 s[20:21], s[20:21], exec
	v_mov_b32_e32 v1, v14
	v_mov_b32_e32 v10, v21
.LBB3_138:                              ;   in Loop: Header=BB3_131 Depth=1
	s_or_b64 exec, exec, s[18:19]
	s_and_b64 exec, exec, s[20:21]
	s_cbranch_execz .LBB3_130
; %bb.139:                              ;   in Loop: Header=BB3_131 Depth=1
	v_add_u32_e32 v12, v18, v10
	s_mov_b64 s[18:19], 0
	s_branch .LBB3_141
.LBB3_140:                              ;   in Loop: Header=BB3_141 Depth=2
	v_ashrrev_i32_e32 v11, 31, v10
	v_lshl_add_u64 v[10:11], v[10:11], 2, s[40:41]
	global_load_dword v10, v[10:11], off
	v_add_u32_e32 v1, 4, v1
	v_cmp_le_i32_e32 vcc, s27, v1
	s_or_b64 s[18:19], vcc, s[18:19]
	s_waitcnt vmcnt(0)
	ds_write_b32 v12, v10
	v_add_u32_e32 v12, 0x110, v12
	s_andn2_b64 exec, exec, s[18:19]
	s_cbranch_execz .LBB3_130
.LBB3_141:                              ;   Parent Loop BB3_131 Depth=1
                                        ; =>  This Inner Loop Header: Depth=2
	s_mov_b64 s[20:21], -1
	s_and_b64 vcc, exec, s[12:13]
                                        ; implicit-def: $vgpr10
	s_cbranch_vccz .LBB3_143
; %bb.142:                              ;   in Loop: Header=BB3_141 Depth=2
	v_add_u32_e32 v10, s24, v1
	v_mad_u64_u32 v[10:11], s[20:21], v10, s27, v[8:9]
	s_mov_b64 s[20:21], 0
.LBB3_143:                              ;   in Loop: Header=BB3_141 Depth=2
	s_andn2_b64 vcc, exec, s[20:21]
	s_cbranch_vccnz .LBB3_140
; %bb.144:                              ;   in Loop: Header=BB3_141 Depth=2
	v_add_u32_e32 v10, v20, v1
	s_branch .LBB3_140
.LBB3_145:
	s_mov_b64 s[48:49], -1
	s_branch .LBB3_252
.LBB3_146:
	s_or_b64 exec, exec, s[10:11]
	s_cmp_lt_i32 s27, 1
	s_waitcnt lgkmcnt(0)
	s_cbranch_scc1 .LBB3_168
; %bb.147:
	s_cmp_eq_u64 s[44:45], 8
	v_cvt_f64_f32_e32 v[6:7], v17
	s_cselect_b64 vcc, -1, 0
	v_bfe_u32 v1, v0, 10, 10
	v_cndmask_b32_e32 v2, v6, v2, vcc
	v_or_b32_e32 v6, v4, v1
	v_cndmask_b32_e32 v3, v7, v3, vcc
	v_cmp_eq_u32_e64 s[2:3], 0, v6
	s_movk_i32 s6, 0x44
	v_mul_u32_u24_e32 v6, 0x44, v1
	v_lshlrev_b32_e32 v7, 2, v4
	s_movk_i32 s7, 0x48
	v_cndmask_b32_e64 v8, 0, 1, s[54:55]
	s_mov_b32 s18, 0
	v_cmp_eq_u32_e64 s[4:5], 0, v1
	v_add3_u32 v6, v6, v7, s7
	v_mad_u32_u24 v7, v1, s6, s6
	v_cmp_ne_u32_e64 s[6:7], 1, v8
.LBB3_148:                              ; =>This Loop Header: Depth=1
                                        ;     Child Loop BB3_160 Depth 2
                                        ;       Child Loop BB3_164 Depth 3
	s_mul_i32 s19, s18, 0x44
	s_lshl_b32 s8, s18, 2
	s_add_i32 s14, s19, s8
	v_mov_b32_e32 v8, s14
	s_waitcnt lgkmcnt(0)
	ds_read_b32 v9, v8
	s_mov_b64 s[12:13], -1
	s_mov_b64 s[8:9], 0
	s_and_b64 vcc, exec, s[6:7]
	s_mov_b64 s[10:11], 0
                                        ; implicit-def: $vgpr8
	s_cbranch_vccz .LBB3_153
; %bb.149:                              ;   in Loop: Header=BB3_148 Depth=1
	s_andn2_b64 vcc, exec, s[12:13]
	s_cbranch_vccz .LBB3_156
.LBB3_150:                              ;   in Loop: Header=BB3_148 Depth=1
	s_andn2_b64 vcc, exec, s[10:11]
                                        ; implicit-def: $sgpr20
	s_cbranch_vccz .LBB3_157
.LBB3_151:                              ;   in Loop: Header=BB3_148 Depth=1
	s_andn2_b64 vcc, exec, s[8:9]
	s_cbranch_vccz .LBB3_166
.LBB3_152:                              ;   in Loop: Header=BB3_148 Depth=1
	v_add_u32_e32 v6, 0x48, v6
	s_cmp_eq_u32 s20, s27
	v_add_u32_e32 v7, 0x48, v7
	s_cbranch_scc0 .LBB3_167
	s_branch .LBB3_168
.LBB3_153:                              ;   in Loop: Header=BB3_148 Depth=1
	s_waitcnt lgkmcnt(0)
	v_cmp_gt_f32_e32 vcc, 0, v9
	s_nop 1
	v_cndmask_b32_e64 v8, v9, -v9, vcc
	v_cvt_f64_f32_e32 v[10:11], v8
	v_cmp_ge_f64_e32 vcc, v[2:3], v[10:11]
	s_nop 1
	v_cndmask_b32_e32 v8, v9, v16, vcc
	s_and_saveexec_b64 s[10:11], s[2:3]
; %bb.154:                              ;   in Loop: Header=BB3_148 Depth=1
	v_mov_b32_e32 v10, s14
	ds_write_b32 v10, v8
; %bb.155:                              ;   in Loop: Header=BB3_148 Depth=1
	s_or_b64 exec, exec, s[10:11]
	s_mov_b64 s[10:11], -1
	s_cbranch_execnz .LBB3_150
.LBB3_156:                              ;   in Loop: Header=BB3_148 Depth=1
	s_waitcnt lgkmcnt(0)
	v_cmp_neq_f32_e64 s[10:11], 0, v9
	s_mov_b64 s[8:9], -1
	v_mov_b32_e32 v8, v9
	s_andn2_b64 vcc, exec, s[10:11]
                                        ; implicit-def: $sgpr20
	s_cbranch_vccnz .LBB3_151
.LBB3_157:                              ;   in Loop: Header=BB3_148 Depth=1
	s_add_i32 s20, s18, 1
	s_waitcnt lgkmcnt(0)
	v_add_u32_e32 v9, s20, v4
	v_cmp_gt_i32_e32 vcc, s27, v9
	s_and_saveexec_b64 s[10:11], vcc
	s_cbranch_execz .LBB3_165
; %bb.158:                              ;   in Loop: Header=BB3_148 Depth=1
	v_add_u32_e32 v10, s20, v1
	v_cmp_gt_i32_e64 s[8:9], s27, v10
	s_mov_b64 s[12:13], 0
	v_mov_b32_e32 v11, v6
	s_branch .LBB3_160
.LBB3_159:                              ;   in Loop: Header=BB3_160 Depth=2
	s_or_b64 exec, exec, s[14:15]
	v_add_u32_e32 v9, 16, v9
	v_cmp_le_i32_e32 vcc, s27, v9
	s_or_b64 s[12:13], vcc, s[12:13]
	v_add_u32_e32 v11, 64, v11
	s_andn2_b64 exec, exec, s[12:13]
	s_cbranch_execz .LBB3_165
.LBB3_160:                              ;   Parent Loop BB3_148 Depth=1
                                        ; =>  This Loop Header: Depth=2
                                        ;       Child Loop BB3_164 Depth 3
	v_lshl_add_u32 v13, v9, 2, s19
	ds_read_b32 v12, v13
	s_waitcnt lgkmcnt(0)
	v_div_scale_f32 v14, s[14:15], v8, v8, v12
	v_rcp_f32_e32 v15, v14
	v_div_scale_f32 v17, vcc, v12, v8, v12
	v_fma_f32 v18, -v14, v15, 1.0
	v_fmac_f32_e32 v15, v18, v15
	v_mul_f32_e32 v18, v17, v15
	v_fma_f32 v19, -v14, v18, v17
	v_fmac_f32_e32 v18, v19, v15
	v_fma_f32 v14, -v14, v18, v17
	v_div_fmas_f32 v14, v14, v15, v18
	v_div_fixup_f32 v12, v14, v8, v12
	s_and_saveexec_b64 s[14:15], s[4:5]
; %bb.161:                              ;   in Loop: Header=BB3_160 Depth=2
	ds_write_b32 v13, v12
; %bb.162:                              ;   in Loop: Header=BB3_160 Depth=2
	s_or_b64 exec, exec, s[14:15]
	s_and_saveexec_b64 s[14:15], s[8:9]
	s_cbranch_execz .LBB3_159
; %bb.163:                              ;   in Loop: Header=BB3_160 Depth=2
	s_mov_b64 s[16:17], 0
	v_mov_b32_e32 v13, v7
	v_mov_b32_e32 v14, v11
	;; [unrolled: 1-line block ×3, first 2 shown]
.LBB3_164:                              ;   Parent Loop BB3_148 Depth=1
                                        ;     Parent Loop BB3_160 Depth=2
                                        ; =>    This Inner Loop Header: Depth=3
	ds_read_b32 v17, v13
	ds_read_b32 v18, v14
	v_add_u32_e32 v15, 4, v15
	v_cmp_le_i32_e32 vcc, s27, v15
	s_or_b64 s[16:17], vcc, s[16:17]
	v_add_u32_e32 v13, 0x110, v13
	s_waitcnt lgkmcnt(0)
	v_fma_f32 v17, -v12, v17, v18
	ds_write_b32 v14, v17
	v_add_u32_e32 v14, 0x110, v14
	s_andn2_b64 exec, exec, s[16:17]
	s_cbranch_execnz .LBB3_164
	s_branch .LBB3_159
.LBB3_165:                              ;   in Loop: Header=BB3_148 Depth=1
	s_or_b64 exec, exec, s[10:11]
	s_cbranch_execnz .LBB3_152
.LBB3_166:                              ;   in Loop: Header=BB3_148 Depth=1
	s_add_i32 s20, s18, 1
	s_mov_b64 s[48:49], -1
	v_add_u32_e32 v6, 0x48, v6
	s_cmp_eq_u32 s20, s27
	v_add_u32_e32 v7, 0x48, v7
	s_cbranch_scc1 .LBB3_168
.LBB3_167:                              ;   in Loop: Header=BB3_148 Depth=1
	s_mov_b32 s18, s20
	s_branch .LBB3_148
.LBB3_168:
	s_waitcnt lgkmcnt(0)
	s_and_saveexec_b64 s[8:9], s[0:1]
	s_cbranch_execz .LBB3_185
; %bb.169:
	v_bfe_u32 v2, v0, 10, 10
	v_xad_u32 v1, v2, -1, s27
	v_lshrrev_b32_e32 v3, 2, v1
	v_add_u32_e32 v6, 1, v3
	s_cmp_lg_u32 s52, 0
	s_mul_i32 s22, s50, s27
	v_and_b32_e32 v10, 0x7ffffffe, v6
	s_cselect_b64 s[10:11], -1, 0
	s_cmp_eq_u32 s52, 0
	v_cmp_lt_u32_e64 s[4:5], 3, v1
	v_lshl_add_u32 v11, v10, 2, v2
	s_movk_i32 s14, 0x44
	v_add_u32_e32 v1, s22, v4
	v_cmp_gt_u32_e64 s[0:1], s27, v2
	s_cselect_b64 s[2:3], -1, 0
	s_mov_b32 s23, s22
	s_mov_b32 s24, s27
	v_add_u32_e32 v3, 4, v2
	v_cmp_ne_u32_e64 s[6:7], v6, v10
	v_mul_u32_u24_e32 v12, 0x44, v2
	v_mad_u32_u24 v13, v2, s14, v5
	v_mul_lo_u32 v14, s27, v1
	s_lshl_b32 s25, s27, 4
	s_mov_b64 s[12:13], 0
	v_mul_lo_u32 v15, v11, s14
	s_branch .LBB3_171
.LBB3_170:                              ;   in Loop: Header=BB3_171 Depth=1
	s_or_b64 exec, exec, s[14:15]
	v_add_u32_e32 v4, 16, v4
	v_cmp_le_i32_e32 vcc, s27, v4
	v_add_u32_e32 v13, 64, v13
	v_add_u32_e32 v14, s25, v14
	s_or_b64 s[12:13], vcc, s[12:13]
	v_add_u32_e32 v5, 64, v5
	s_andn2_b64 exec, exec, s[12:13]
	s_cbranch_execz .LBB3_185
.LBB3_171:                              ; =>This Loop Header: Depth=1
                                        ;     Child Loop BB3_174 Depth 2
                                        ;     Child Loop BB3_181 Depth 2
	s_and_saveexec_b64 s[14:15], s[0:1]
	s_cbranch_execz .LBB3_170
; %bb.172:                              ;   in Loop: Header=BB3_171 Depth=1
	s_mov_b64 s[18:19], -1
	v_mov_b32_e32 v1, v2
	v_mov_b32_e32 v6, v12
	s_and_saveexec_b64 s[16:17], s[4:5]
	s_cbranch_execz .LBB3_178
; %bb.173:                              ;   in Loop: Header=BB3_171 Depth=1
	v_add_u32_e32 v1, s22, v4
	v_mul_lo_u32 v6, v1, s27
	v_mov_b32_e32 v1, v6
	s_mov_b64 s[18:19], 0
	v_mov_b32_e32 v7, v10
	v_mov_b32_e32 v16, v13
	v_mov_b64_e32 v[8:9], v[2:3]
.LBB3_174:                              ;   Parent Loop BB3_171 Depth=1
                                        ; =>  This Inner Loop Header: Depth=2
	ds_read2_b32 v[18:19], v16 offset1:68
	v_add_u32_e32 v17, s22, v8
	v_add_u32_e32 v20, s23, v9
	;; [unrolled: 1-line block ×3, first 2 shown]
	v_mad_u64_u32 v[22:23], s[20:21], v17, s27, v[4:5]
	v_add_u32_e32 v24, v9, v1
	v_add_u32_e32 v7, -2, v7
	v_mad_u64_u32 v[20:21], s[20:21], v20, s24, v[4:5]
	v_cndmask_b32_e64 v22, v22, v25, s[2:3]
	v_cmp_eq_u32_e32 vcc, 0, v7
	v_cndmask_b32_e64 v20, v20, v24, s[2:3]
	v_ashrrev_i32_e32 v23, 31, v22
	v_add_u32_e32 v9, 8, v9
	v_add_u32_e32 v8, 8, v8
	;; [unrolled: 1-line block ×3, first 2 shown]
	s_or_b64 s[18:19], vcc, s[18:19]
	v_ashrrev_i32_e32 v21, 31, v20
	v_lshl_add_u64 v[22:23], v[22:23], 2, s[40:41]
	v_lshl_add_u64 v[20:21], v[20:21], 2, s[40:41]
	s_waitcnt lgkmcnt(0)
	global_store_dword v[22:23], v18, off
	global_store_dword v[20:21], v19, off
	s_andn2_b64 exec, exec, s[18:19]
	s_cbranch_execnz .LBB3_174
; %bb.175:                              ;   in Loop: Header=BB3_171 Depth=1
	s_or_b64 exec, exec, s[18:19]
	s_mov_b64 s[18:19], 0
	s_and_saveexec_b64 s[20:21], s[6:7]
; %bb.176:                              ;   in Loop: Header=BB3_171 Depth=1
	s_mov_b64 s[18:19], exec
; %bb.177:                              ;   in Loop: Header=BB3_171 Depth=1
	s_or_b64 exec, exec, s[20:21]
	s_orn2_b64 s[18:19], s[18:19], exec
	v_mov_b32_e32 v1, v11
	v_mov_b32_e32 v6, v15
.LBB3_178:                              ;   in Loop: Header=BB3_171 Depth=1
	s_or_b64 exec, exec, s[16:17]
	s_and_b64 exec, exec, s[18:19]
	s_cbranch_execz .LBB3_170
; %bb.179:                              ;   in Loop: Header=BB3_171 Depth=1
	v_add_u32_e32 v8, v5, v6
	s_mov_b64 s[16:17], 0
	s_branch .LBB3_181
.LBB3_180:                              ;   in Loop: Header=BB3_181 Depth=2
	v_add_u32_e32 v1, 4, v1
	v_ashrrev_i32_e32 v7, 31, v6
	v_cmp_le_i32_e32 vcc, s27, v1
	v_lshl_add_u64 v[6:7], v[6:7], 2, s[40:41]
	s_or_b64 s[16:17], vcc, s[16:17]
	v_add_u32_e32 v8, 0x110, v8
	s_waitcnt lgkmcnt(0)
	global_store_dword v[6:7], v9, off
	s_andn2_b64 exec, exec, s[16:17]
	s_cbranch_execz .LBB3_170
.LBB3_181:                              ;   Parent Loop BB3_171 Depth=1
                                        ; =>  This Inner Loop Header: Depth=2
	ds_read_b32 v9, v8
	s_mov_b64 s[18:19], -1
	s_and_b64 vcc, exec, s[10:11]
                                        ; implicit-def: $vgpr6
	s_cbranch_vccz .LBB3_183
; %bb.182:                              ;   in Loop: Header=BB3_181 Depth=2
	v_add_u32_e32 v6, s22, v1
	v_mad_u64_u32 v[6:7], s[18:19], v6, s27, v[4:5]
	s_mov_b64 s[18:19], 0
.LBB3_183:                              ;   in Loop: Header=BB3_181 Depth=2
	s_andn2_b64 vcc, exec, s[18:19]
	s_cbranch_vccnz .LBB3_180
; %bb.184:                              ;   in Loop: Header=BB3_181 Depth=2
	v_add_u32_e32 v6, v14, v1
	s_branch .LBB3_180
.LBB3_185:
	s_or_b64 exec, exec, s[8:9]
.LBB3_186:
	s_add_i32 s33, s50, 1
	s_cmp_ge_i32 s33, s31
	s_cbranch_scc1 .LBB3_252
; %bb.187:
	v_bfe_u32 v2, v0, 10, 10
	v_xad_u32 v1, v2, -1, s27
	v_and_b32_e32 v5, 0x3ff, v0
	s_cmp_lg_u32 s52, 0
	v_lshrrev_b32_e32 v3, 2, v1
	v_cmp_lt_u32_e64 s[8:9], 3, v1
	v_mov_b32_e32 v1, 0x440
	s_mul_i32 s16, s27, s33
	s_cselect_b64 s[18:19], -1, 0
	s_cmp_eq_u32 s52, 0
	v_add_u32_e32 v4, 1, v3
	v_lshl_add_u32 v14, v5, 2, v1
	v_add_u32_e32 v1, s16, v5
	s_cselect_b64 s[6:7], -1, 0
	s_cmp_gt_i32 s27, 0
	v_and_b32_e32 v11, 0x7ffffffe, v4
	s_movk_i32 s52, 0x44
	v_mul_lo_u32 v16, s27, v1
	v_lshlrev_b32_e32 v1, 2, v2
	s_cselect_b64 s[12:13], -1, 0
	v_cmp_ne_u32_e64 s[10:11], v4, v11
	s_cmp_lg_u32 s27, 1
	v_mad_u32_u24 v4, v5, s52, v1
	v_add_u32_e32 v18, 4, v1
	v_add_u32_e32 v19, 0x4c, v1
	v_mov_b32_e32 v1, 0x444
	s_cselect_b64 s[14:15], -1, 0
	s_and_b32 s51, s27, 0x7ffffffe
	v_mad_u32_u24 v21, v5, s52, v1
	v_cndmask_b32_e64 v1, 0, 1, s[12:13]
	v_lshl_add_u32 v12, v11, 2, v2
	s_bitcmp1_b32 s27, 0
	v_cmp_ne_u32_e64 s[12:13], 1, v1
	v_cndmask_b32_e64 v1, 0, 1, s[14:15]
	v_cmp_gt_i32_e64 s[0:1], s27, v5
	v_cmp_le_i32_e64 s[2:3], s27, v5
	v_cmp_gt_i32_e64 s[4:5], s27, v2
	v_add_u32_e32 v10, 1, v2
	s_mov_b32 s50, s27
	v_add_u32_e32 v3, 4, v2
	s_cselect_b64 s[20:21], -1, 0
	v_mul_u32_u24_e32 v13, 0x44, v2
	v_mad_u32_u24 v15, v2, s52, v14
	s_mul_i32 s53, s27, s27
	s_lshl_b32 s54, s27, 4
	v_add_u32_e32 v17, 0x444, v4
	v_add_u32_e32 v20, 0x448, v4
	v_mul_lo_u32 v22, v12, s52
	v_cmp_ne_u32_e64 s[14:15], 1, v1
	s_branch .LBB3_190
.LBB3_188:                              ;   in Loop: Header=BB3_190 Depth=1
	s_or_b64 exec, exec, s[22:23]
.LBB3_189:                              ;   in Loop: Header=BB3_190 Depth=1
	s_or_b64 exec, exec, s[16:17]
	s_add_i32 s33, s33, 1
	s_cmp_ge_i32 s33, s31
	v_add_u32_e32 v16, s53, v16
	s_cbranch_scc1 .LBB3_252
.LBB3_190:                              ; =>This Loop Header: Depth=1
                                        ;     Child Loop BB3_193 Depth 2
                                        ;       Child Loop BB3_196 Depth 3
                                        ;       Child Loop BB3_203 Depth 3
                                        ;     Child Loop BB3_211 Depth 2
                                        ;       Child Loop BB3_214 Depth 3
                                        ;         Child Loop BB3_216 Depth 4
                                        ;       Child Loop BB3_219 Depth 3
                                        ;         Child Loop BB3_221 Depth 4
                                        ;     Child Loop BB3_228 Depth 2
                                        ;       Child Loop BB3_230 Depth 3
                                        ;     Child Loop BB3_238 Depth 2
                                        ;       Child Loop BB3_241 Depth 3
                                        ;       Child Loop BB3_248 Depth 3
	s_waitcnt lgkmcnt(0)
	s_and_saveexec_b64 s[16:17], s[0:1]
	s_cbranch_execz .LBB3_207
; %bb.191:                              ;   in Loop: Header=BB3_190 Depth=1
	s_mul_i32 s44, s33, s27
	s_mov_b32 s45, s44
	s_mov_b64 s[22:23], 0
	v_mov_b32_e32 v23, v14
	v_mov_b32_e32 v24, v16
	;; [unrolled: 1-line block ×4, first 2 shown]
	s_branch .LBB3_193
.LBB3_192:                              ;   in Loop: Header=BB3_193 Depth=2
	s_or_b64 exec, exec, s[24:25]
	v_add_u32_e32 v4, 16, v4
	v_cmp_le_i32_e32 vcc, s27, v4
	v_add_u32_e32 v25, 64, v25
	v_add_u32_e32 v24, s54, v24
	s_or_b64 s[22:23], vcc, s[22:23]
	v_add_u32_e32 v23, 64, v23
	s_andn2_b64 exec, exec, s[22:23]
	s_cbranch_execz .LBB3_207
.LBB3_193:                              ;   Parent Loop BB3_190 Depth=1
                                        ; =>  This Loop Header: Depth=2
                                        ;       Child Loop BB3_196 Depth 3
                                        ;       Child Loop BB3_203 Depth 3
	s_and_saveexec_b64 s[24:25], s[4:5]
	s_cbranch_execz .LBB3_192
; %bb.194:                              ;   in Loop: Header=BB3_193 Depth=2
	s_mov_b64 s[38:39], -1
	v_mov_b32_e32 v1, v2
	v_mov_b32_e32 v6, v13
	s_and_saveexec_b64 s[36:37], s[8:9]
	s_cbranch_execz .LBB3_200
; %bb.195:                              ;   in Loop: Header=BB3_193 Depth=2
	v_add_u32_e32 v1, s44, v4
	v_mul_lo_u32 v6, v1, s27
	v_mov_b32_e32 v1, v6
	s_mov_b64 s[38:39], 0
	v_mov_b32_e32 v7, v11
	v_mov_b32_e32 v26, v25
	v_mov_b64_e32 v[8:9], v[2:3]
.LBB3_196:                              ;   Parent Loop BB3_190 Depth=1
                                        ;     Parent Loop BB3_193 Depth=2
                                        ; =>    This Inner Loop Header: Depth=3
	v_add_u32_e32 v27, s44, v8
	v_add_u32_e32 v28, s45, v9
	;; [unrolled: 1-line block ×4, first 2 shown]
	v_mad_u64_u32 v[28:29], s[42:43], v28, s50, v[4:5]
	v_mad_u64_u32 v[30:31], s[42:43], v27, s27, v[4:5]
	v_cndmask_b32_e64 v30, v30, v33, s[6:7]
	v_cndmask_b32_e64 v28, v28, v32, s[6:7]
	v_ashrrev_i32_e32 v29, 31, v28
	v_ashrrev_i32_e32 v31, 31, v30
	v_lshl_add_u64 v[30:31], v[30:31], 2, s[40:41]
	v_lshl_add_u64 v[28:29], v[28:29], 2, s[40:41]
	global_load_dword v27, v[30:31], off
	s_nop 0
	global_load_dword v28, v[28:29], off
	v_add_u32_e32 v7, -2, v7
	v_cmp_eq_u32_e32 vcc, 0, v7
	v_add_u32_e32 v9, 8, v9
	v_add_u32_e32 v8, 8, v8
	s_or_b64 s[38:39], vcc, s[38:39]
	s_waitcnt vmcnt(0)
	ds_write2_b32 v26, v27, v28 offset1:68
	v_add_u32_e32 v26, 0x220, v26
	s_andn2_b64 exec, exec, s[38:39]
	s_cbranch_execnz .LBB3_196
; %bb.197:                              ;   in Loop: Header=BB3_193 Depth=2
	s_or_b64 exec, exec, s[38:39]
	s_mov_b64 s[38:39], 0
	s_and_saveexec_b64 s[42:43], s[10:11]
; %bb.198:                              ;   in Loop: Header=BB3_193 Depth=2
	s_mov_b64 s[38:39], exec
; %bb.199:                              ;   in Loop: Header=BB3_193 Depth=2
	s_or_b64 exec, exec, s[42:43]
	s_orn2_b64 s[38:39], s[38:39], exec
	v_mov_b32_e32 v1, v12
	v_mov_b32_e32 v6, v22
.LBB3_200:                              ;   in Loop: Header=BB3_193 Depth=2
	s_or_b64 exec, exec, s[36:37]
	s_and_b64 exec, exec, s[38:39]
	s_cbranch_execz .LBB3_192
; %bb.201:                              ;   in Loop: Header=BB3_193 Depth=2
	v_add_u32_e32 v8, v23, v6
	s_mov_b64 s[36:37], 0
	s_branch .LBB3_203
.LBB3_202:                              ;   in Loop: Header=BB3_203 Depth=3
	v_ashrrev_i32_e32 v7, 31, v6
	v_lshl_add_u64 v[6:7], v[6:7], 2, s[40:41]
	global_load_dword v6, v[6:7], off
	v_add_u32_e32 v1, 4, v1
	v_cmp_le_i32_e32 vcc, s27, v1
	s_or_b64 s[36:37], vcc, s[36:37]
	s_waitcnt vmcnt(0)
	ds_write_b32 v8, v6
	v_add_u32_e32 v8, 0x110, v8
	s_andn2_b64 exec, exec, s[36:37]
	s_cbranch_execz .LBB3_192
.LBB3_203:                              ;   Parent Loop BB3_190 Depth=1
                                        ;     Parent Loop BB3_193 Depth=2
                                        ; =>    This Inner Loop Header: Depth=3
	s_mov_b64 s[38:39], -1
	s_and_b64 vcc, exec, s[18:19]
                                        ; implicit-def: $vgpr6
	s_cbranch_vccz .LBB3_205
; %bb.204:                              ;   in Loop: Header=BB3_203 Depth=3
	v_add_u32_e32 v6, s44, v1
	v_mad_u64_u32 v[6:7], s[38:39], v6, s27, v[4:5]
	s_mov_b64 s[38:39], 0
.LBB3_205:                              ;   in Loop: Header=BB3_203 Depth=3
	s_andn2_b64 vcc, exec, s[38:39]
	s_cbranch_vccnz .LBB3_202
; %bb.206:                              ;   in Loop: Header=BB3_203 Depth=3
	v_add_u32_e32 v6, v24, v1
	s_branch .LBB3_202
.LBB3_207:                              ;   in Loop: Header=BB3_190 Depth=1
	s_or_b64 exec, exec, s[16:17]
	s_and_b64 vcc, exec, s[12:13]
	s_waitcnt lgkmcnt(0)
	s_cbranch_vccnz .LBB3_231
; %bb.208:                              ;   in Loop: Header=BB3_190 Depth=1
	s_and_b64 vcc, exec, s[14:15]
	s_mov_b32 s43, 0
	s_cbranch_vccnz .LBB3_222
; %bb.209:                              ;   in Loop: Header=BB3_190 Depth=1
	s_mov_b32 s42, 0
	v_mov_b32_e32 v1, v20
	v_mov_b32_e32 v4, v19
	;; [unrolled: 1-line block ×4, first 2 shown]
	s_branch .LBB3_211
.LBB3_210:                              ;   in Loop: Header=BB3_211 Depth=2
	s_or_b64 exec, exec, s[22:23]
	s_add_i32 s42, s42, 2
	v_add_u32_e32 v7, 8, v7
	v_add_u32_e32 v6, 0x90, v6
	;; [unrolled: 1-line block ×4, first 2 shown]
	s_cmp_eq_u32 s42, s51
	s_mov_b32 s43, s51
	s_cbranch_scc1 .LBB3_222
.LBB3_211:                              ;   Parent Loop BB3_190 Depth=1
                                        ; =>  This Loop Header: Depth=2
                                        ;       Child Loop BB3_214 Depth 3
                                        ;         Child Loop BB3_216 Depth 4
                                        ;       Child Loop BB3_219 Depth 3
                                        ;         Child Loop BB3_221 Depth 4
	s_and_saveexec_b64 s[22:23], s[0:1]
	s_cbranch_execz .LBB3_210
; %bb.212:                              ;   in Loop: Header=BB3_211 Depth=2
	v_add_u32_e32 v8, s42, v10
	s_lshl_b32 s43, s42, 2
	v_cmp_gt_i32_e32 vcc, s27, v8
	s_mov_b64 s[24:25], 0
	s_addk_i32 s43, 0x440
	v_mov_b32_e32 v9, v7
	v_mov_b32_e32 v23, v5
	s_branch .LBB3_214
.LBB3_213:                              ;   in Loop: Header=BB3_214 Depth=3
	s_or_b64 exec, exec, s[36:37]
	v_add_u32_e32 v23, 16, v23
	v_cmp_le_i32_e64 s[16:17], s27, v23
	s_or_b64 s[24:25], s[16:17], s[24:25]
	v_add_u32_e32 v9, 0x440, v9
	s_andn2_b64 exec, exec, s[24:25]
	s_cbranch_execz .LBB3_217
.LBB3_214:                              ;   Parent Loop BB3_190 Depth=1
                                        ;     Parent Loop BB3_211 Depth=2
                                        ; =>    This Loop Header: Depth=3
                                        ;         Child Loop BB3_216 Depth 4
	s_and_saveexec_b64 s[36:37], vcc
	s_cbranch_execz .LBB3_213
; %bb.215:                              ;   in Loop: Header=BB3_214 Depth=3
	v_mul_lo_u32 v24, v23, s52
	v_add_u32_e32 v24, s43, v24
	s_mov_b64 s[38:39], 0
	v_mov_b32_e32 v25, v6
	v_mov_b32_e32 v26, v9
	;; [unrolled: 1-line block ×3, first 2 shown]
.LBB3_216:                              ;   Parent Loop BB3_190 Depth=1
                                        ;     Parent Loop BB3_211 Depth=2
                                        ;       Parent Loop BB3_214 Depth=3
                                        ; =>      This Inner Loop Header: Depth=4
	ds_read_b32 v28, v25
	ds_read_b32 v29, v24
	;; [unrolled: 1-line block ×3, first 2 shown]
	v_add_u32_e32 v27, 4, v27
	v_cmp_le_i32_e64 s[16:17], s27, v27
	s_or_b64 s[38:39], s[16:17], s[38:39]
	v_add_u32_e32 v25, 16, v25
	s_waitcnt lgkmcnt(0)
	v_fma_f32 v28, -v28, v29, v30
	ds_write_b32 v26, v28
	v_add_u32_e32 v26, 16, v26
	s_andn2_b64 exec, exec, s[38:39]
	s_cbranch_execnz .LBB3_216
	s_branch .LBB3_213
.LBB3_217:                              ;   in Loop: Header=BB3_211 Depth=2
	s_or_b64 exec, exec, s[24:25]
	v_add3_u32 v8, v10, s42, 1
	v_cmp_gt_i32_e32 vcc, s27, v8
	s_mov_b64 s[24:25], 0
	v_mov_b32_e32 v9, v1
	v_mov_b32_e32 v23, v5
	s_branch .LBB3_219
.LBB3_218:                              ;   in Loop: Header=BB3_219 Depth=3
	s_or_b64 exec, exec, s[36:37]
	v_add_u32_e32 v23, 16, v23
	v_cmp_le_i32_e64 s[16:17], s27, v23
	s_or_b64 s[24:25], s[16:17], s[24:25]
	v_add_u32_e32 v9, 0x440, v9
	s_andn2_b64 exec, exec, s[24:25]
	s_cbranch_execz .LBB3_210
.LBB3_219:                              ;   Parent Loop BB3_190 Depth=1
                                        ;     Parent Loop BB3_211 Depth=2
                                        ; =>    This Loop Header: Depth=3
                                        ;         Child Loop BB3_221 Depth 4
	s_and_saveexec_b64 s[36:37], vcc
	s_cbranch_execz .LBB3_218
; %bb.220:                              ;   in Loop: Header=BB3_219 Depth=3
	v_mul_lo_u32 v24, v23, s52
	v_add_u32_e32 v24, s43, v24
	s_mov_b64 s[38:39], 0
	v_mov_b32_e32 v25, v9
	v_mov_b32_e32 v26, v4
	;; [unrolled: 1-line block ×3, first 2 shown]
.LBB3_221:                              ;   Parent Loop BB3_190 Depth=1
                                        ;     Parent Loop BB3_211 Depth=2
                                        ;       Parent Loop BB3_219 Depth=3
                                        ; =>      This Inner Loop Header: Depth=4
	ds_read_b32 v28, v26
	ds_read_b32 v29, v24 offset:4
	ds_read_b32 v30, v25
	v_add_u32_e32 v27, 4, v27
	v_cmp_le_i32_e64 s[16:17], s27, v27
	v_add_u32_e32 v26, 16, v26
	s_or_b64 s[38:39], s[16:17], s[38:39]
	s_waitcnt lgkmcnt(0)
	v_fma_f32 v28, -v28, v29, v30
	ds_write_b32 v25, v28
	v_add_u32_e32 v25, 16, v25
	s_andn2_b64 exec, exec, s[38:39]
	s_cbranch_execnz .LBB3_221
	s_branch .LBB3_218
.LBB3_222:                              ;   in Loop: Header=BB3_190 Depth=1
	s_andn2_b64 vcc, exec, s[20:21]
	s_mov_b64 s[16:17], -1
	s_cbranch_vccnz .LBB3_232
; %bb.223:                              ;   in Loop: Header=BB3_190 Depth=1
	s_and_saveexec_b64 s[16:17], s[2:3]
	s_xor_b64 s[16:17], exec, s[16:17]
	s_cbranch_execz .LBB3_225
; %bb.224:                              ;   in Loop: Header=BB3_190 Depth=1
	s_waitcnt lgkmcnt(0)
.LBB3_225:                              ;   in Loop: Header=BB3_190 Depth=1
	s_or_saveexec_b64 s[22:23], s[16:17]
	s_mov_b64 s[16:17], 0
	s_xor_b64 exec, exec, s[22:23]
	s_cbranch_execz .LBB3_234
; %bb.226:                              ;   in Loop: Header=BB3_190 Depth=1
	v_add_u32_e32 v1, s43, v10
	v_add_u32_e32 v4, s43, v2
	s_mul_i32 s16, s43, 0x48
	v_cmp_gt_i32_e32 vcc, s27, v1
	v_lshl_add_u32 v4, v4, 2, v21
	v_add_u32_e32 v6, s16, v18
	s_mov_b64 s[24:25], 0
	v_mov_b32_e32 v7, v5
	s_branch .LBB3_228
.LBB3_227:                              ;   in Loop: Header=BB3_228 Depth=2
	s_or_b64 exec, exec, s[36:37]
	v_add_u32_e32 v7, 16, v7
	v_cmp_le_i32_e64 s[16:17], s27, v7
	s_or_b64 s[24:25], s[16:17], s[24:25]
	v_add_u32_e32 v4, 0x440, v4
	s_andn2_b64 exec, exec, s[24:25]
	s_cbranch_execz .LBB3_233
.LBB3_228:                              ;   Parent Loop BB3_190 Depth=1
                                        ; =>  This Loop Header: Depth=2
                                        ;       Child Loop BB3_230 Depth 3
	s_and_saveexec_b64 s[36:37], vcc
	s_cbranch_execz .LBB3_227
; %bb.229:                              ;   in Loop: Header=BB3_228 Depth=2
	s_lshl_b32 s16, s43, 2
	v_mul_lo_u32 v8, v7, s52
	s_addk_i32 s16, 0x440
	v_add_u32_e32 v8, s16, v8
	s_mov_b64 s[38:39], 0
	v_mov_b32_e32 v9, v6
	v_mov_b32_e32 v23, v4
	;; [unrolled: 1-line block ×3, first 2 shown]
.LBB3_230:                              ;   Parent Loop BB3_190 Depth=1
                                        ;     Parent Loop BB3_228 Depth=2
                                        ; =>    This Inner Loop Header: Depth=3
	ds_read_b32 v25, v9
	ds_read_b32 v26, v8
	;; [unrolled: 1-line block ×3, first 2 shown]
	v_add_u32_e32 v24, 4, v24
	v_cmp_le_i32_e64 s[16:17], s27, v24
	s_or_b64 s[38:39], s[16:17], s[38:39]
	v_add_u32_e32 v9, 16, v9
	s_waitcnt lgkmcnt(0)
	v_fma_f32 v25, -v25, v26, v27
	ds_write_b32 v23, v25
	v_add_u32_e32 v23, 16, v23
	s_andn2_b64 exec, exec, s[38:39]
	s_cbranch_execnz .LBB3_230
	s_branch .LBB3_227
.LBB3_231:                              ;   in Loop: Header=BB3_190 Depth=1
	s_mov_b64 s[16:17], -1
.LBB3_232:                              ;   in Loop: Header=BB3_190 Depth=1
	s_and_saveexec_b64 s[22:23], s[16:17]
	s_xor_b64 s[16:17], exec, s[22:23]
	s_cbranch_execz .LBB3_189
	s_branch .LBB3_235
.LBB3_233:                              ;   in Loop: Header=BB3_190 Depth=1
	s_or_b64 exec, exec, s[24:25]
	s_mov_b64 s[16:17], exec
.LBB3_234:                              ;   in Loop: Header=BB3_190 Depth=1
	s_or_b64 exec, exec, s[22:23]
	s_and_saveexec_b64 s[22:23], s[16:17]
	s_xor_b64 s[16:17], exec, s[22:23]
	s_cbranch_execz .LBB3_189
.LBB3_235:                              ;   in Loop: Header=BB3_190 Depth=1
	s_waitcnt lgkmcnt(0)
	s_and_saveexec_b64 s[22:23], s[0:1]
	s_cbranch_execz .LBB3_188
; %bb.236:                              ;   in Loop: Header=BB3_190 Depth=1
	s_mul_i32 s55, s33, s27
	s_mov_b32 s56, s55
	s_mov_b64 s[24:25], 0
	v_mov_b32_e32 v23, v14
	v_mov_b32_e32 v24, v16
	;; [unrolled: 1-line block ×4, first 2 shown]
	s_branch .LBB3_238
.LBB3_237:                              ;   in Loop: Header=BB3_238 Depth=2
	s_or_b64 exec, exec, s[36:37]
	v_add_u32_e32 v4, 16, v4
	v_cmp_le_i32_e32 vcc, s27, v4
	v_add_u32_e32 v25, 64, v25
	v_add_u32_e32 v24, s54, v24
	s_or_b64 s[24:25], vcc, s[24:25]
	v_add_u32_e32 v23, 64, v23
	s_andn2_b64 exec, exec, s[24:25]
	s_cbranch_execz .LBB3_188
.LBB3_238:                              ;   Parent Loop BB3_190 Depth=1
                                        ; =>  This Loop Header: Depth=2
                                        ;       Child Loop BB3_241 Depth 3
                                        ;       Child Loop BB3_248 Depth 3
	s_and_saveexec_b64 s[36:37], s[4:5]
	s_cbranch_execz .LBB3_237
; %bb.239:                              ;   in Loop: Header=BB3_238 Depth=2
	s_mov_b64 s[42:43], -1
	v_mov_b32_e32 v1, v2
	v_mov_b32_e32 v6, v13
	s_and_saveexec_b64 s[38:39], s[8:9]
	s_cbranch_execz .LBB3_245
; %bb.240:                              ;   in Loop: Header=BB3_238 Depth=2
	v_add_u32_e32 v1, s55, v4
	v_mul_lo_u32 v6, v1, s27
	v_mov_b32_e32 v1, v6
	s_mov_b64 s[42:43], 0
	v_mov_b32_e32 v7, v11
	v_mov_b32_e32 v26, v25
	v_mov_b64_e32 v[8:9], v[2:3]
.LBB3_241:                              ;   Parent Loop BB3_190 Depth=1
                                        ;     Parent Loop BB3_238 Depth=2
                                        ; =>    This Inner Loop Header: Depth=3
	ds_read2_b32 v[28:29], v26 offset1:68
	v_add_u32_e32 v27, s55, v8
	v_add_u32_e32 v30, s56, v9
	;; [unrolled: 1-line block ×3, first 2 shown]
	v_mad_u64_u32 v[32:33], s[44:45], v27, s27, v[4:5]
	v_add_u32_e32 v34, v9, v1
	v_add_u32_e32 v7, -2, v7
	v_mad_u64_u32 v[30:31], s[44:45], v30, s50, v[4:5]
	v_cndmask_b32_e64 v32, v32, v35, s[6:7]
	v_cmp_eq_u32_e32 vcc, 0, v7
	v_cndmask_b32_e64 v30, v30, v34, s[6:7]
	v_ashrrev_i32_e32 v33, 31, v32
	v_add_u32_e32 v9, 8, v9
	v_add_u32_e32 v8, 8, v8
	;; [unrolled: 1-line block ×3, first 2 shown]
	s_or_b64 s[42:43], vcc, s[42:43]
	v_ashrrev_i32_e32 v31, 31, v30
	v_lshl_add_u64 v[32:33], v[32:33], 2, s[40:41]
	v_lshl_add_u64 v[30:31], v[30:31], 2, s[40:41]
	s_waitcnt lgkmcnt(0)
	global_store_dword v[32:33], v28, off
	global_store_dword v[30:31], v29, off
	s_andn2_b64 exec, exec, s[42:43]
	s_cbranch_execnz .LBB3_241
; %bb.242:                              ;   in Loop: Header=BB3_238 Depth=2
	s_or_b64 exec, exec, s[42:43]
	s_mov_b64 s[42:43], 0
                                        ; implicit-def: $vgpr6
	s_and_saveexec_b64 s[44:45], s[10:11]
; %bb.243:                              ;   in Loop: Header=BB3_238 Depth=2
	s_mov_b64 s[42:43], exec
	v_mul_lo_u32 v6, v12, s52
; %bb.244:                              ;   in Loop: Header=BB3_238 Depth=2
	s_or_b64 exec, exec, s[44:45]
	s_orn2_b64 s[42:43], s[42:43], exec
	v_mov_b32_e32 v1, v12
.LBB3_245:                              ;   in Loop: Header=BB3_238 Depth=2
	s_or_b64 exec, exec, s[38:39]
	s_and_b64 exec, exec, s[42:43]
	s_cbranch_execz .LBB3_237
; %bb.246:                              ;   in Loop: Header=BB3_238 Depth=2
	v_add_u32_e32 v8, v23, v6
	s_mov_b64 s[38:39], 0
	s_branch .LBB3_248
.LBB3_247:                              ;   in Loop: Header=BB3_248 Depth=3
	v_add_u32_e32 v1, 4, v1
	v_ashrrev_i32_e32 v7, 31, v6
	v_cmp_le_i32_e32 vcc, s27, v1
	v_lshl_add_u64 v[6:7], v[6:7], 2, s[40:41]
	s_or_b64 s[38:39], vcc, s[38:39]
	v_add_u32_e32 v8, 0x110, v8
	s_waitcnt lgkmcnt(0)
	global_store_dword v[6:7], v9, off
	s_andn2_b64 exec, exec, s[38:39]
	s_cbranch_execz .LBB3_237
.LBB3_248:                              ;   Parent Loop BB3_190 Depth=1
                                        ;     Parent Loop BB3_238 Depth=2
                                        ; =>    This Inner Loop Header: Depth=3
	ds_read_b32 v9, v8
	s_mov_b64 s[42:43], -1
	s_and_b64 vcc, exec, s[18:19]
                                        ; implicit-def: $vgpr6
	s_cbranch_vccz .LBB3_250
; %bb.249:                              ;   in Loop: Header=BB3_248 Depth=3
	v_add_u32_e32 v6, s55, v1
	v_mad_u64_u32 v[6:7], s[42:43], v6, s27, v[4:5]
	s_mov_b64 s[42:43], 0
.LBB3_250:                              ;   in Loop: Header=BB3_248 Depth=3
	s_andn2_b64 vcc, exec, s[42:43]
	s_cbranch_vccnz .LBB3_247
; %bb.251:                              ;   in Loop: Header=BB3_248 Depth=3
	v_add_u32_e32 v6, v24, v1
	s_branch .LBB3_247
.LBB3_252:
	v_and_b32_e32 v0, 0xfffff, v0
	v_cmp_eq_u32_e32 vcc, 0, v0
	s_and_saveexec_b64 s[0:1], vcc
	s_cbranch_execz .LBB3_256
; %bb.253:
	s_add_u32 s0, s28, s46
	s_addc_u32 s1, s29, s47
	v_mov_b32_e32 v0, 0
	v_mov_b32_e32 v1, 1
	s_andn2_b64 vcc, exec, s[48:49]
	buffer_wbl2 sc1
	s_waitcnt vmcnt(0) lgkmcnt(0)
	global_store_dword v0, v1, s[0:1] sc1
	s_cbranch_vccnz .LBB3_256
; %bb.254:
	v_mbcnt_lo_u32_b32 v0, exec_lo, 0
	v_mbcnt_hi_u32_b32 v0, exec_hi, v0
	v_cmp_eq_u32_e32 vcc, 0, v0
	s_and_b64 exec, exec, vcc
	s_cbranch_execz .LBB3_256
; %bb.255:
	s_add_i32 s0, s30, s26
	v_mov_b32_e32 v0, 0
	v_mov_b32_e32 v1, s0
	global_atomic_smin v0, v1, s[34:35]
.LBB3_256:
	s_endpgm
	.section	.rodata,"a",@progbits
	.p2align	6, 0x0
	.amdhsa_kernel _ZN9rocsparseL12bsrilu0_9_32ILj64ELj64ELj16EfEEv20rocsparse_direction_iPKiS3_PT2_S3_iPiS3_S6_21rocsparse_index_base_imNS_24const_host_device_scalarIfEENS8_IdEENS8_IS4_EEb
		.amdhsa_group_segment_fixed_size 2176
		.amdhsa_private_segment_fixed_size 0
		.amdhsa_kernarg_size 116
		.amdhsa_user_sgpr_count 2
		.amdhsa_user_sgpr_dispatch_ptr 0
		.amdhsa_user_sgpr_queue_ptr 0
		.amdhsa_user_sgpr_kernarg_segment_ptr 1
		.amdhsa_user_sgpr_dispatch_id 0
		.amdhsa_user_sgpr_kernarg_preload_length 0
		.amdhsa_user_sgpr_kernarg_preload_offset 0
		.amdhsa_user_sgpr_private_segment_size 0
		.amdhsa_uses_dynamic_stack 0
		.amdhsa_enable_private_segment 0
		.amdhsa_system_sgpr_workgroup_id_x 1
		.amdhsa_system_sgpr_workgroup_id_y 0
		.amdhsa_system_sgpr_workgroup_id_z 0
		.amdhsa_system_sgpr_workgroup_info 0
		.amdhsa_system_vgpr_workitem_id 1
		.amdhsa_next_free_vgpr 56
		.amdhsa_next_free_sgpr 82
		.amdhsa_accum_offset 56
		.amdhsa_reserve_vcc 1
		.amdhsa_float_round_mode_32 0
		.amdhsa_float_round_mode_16_64 0
		.amdhsa_float_denorm_mode_32 3
		.amdhsa_float_denorm_mode_16_64 3
		.amdhsa_dx10_clamp 1
		.amdhsa_ieee_mode 1
		.amdhsa_fp16_overflow 0
		.amdhsa_tg_split 0
		.amdhsa_exception_fp_ieee_invalid_op 0
		.amdhsa_exception_fp_denorm_src 0
		.amdhsa_exception_fp_ieee_div_zero 0
		.amdhsa_exception_fp_ieee_overflow 0
		.amdhsa_exception_fp_ieee_underflow 0
		.amdhsa_exception_fp_ieee_inexact 0
		.amdhsa_exception_int_div_zero 0
	.end_amdhsa_kernel
	.section	.text._ZN9rocsparseL12bsrilu0_9_32ILj64ELj64ELj16EfEEv20rocsparse_direction_iPKiS3_PT2_S3_iPiS3_S6_21rocsparse_index_base_imNS_24const_host_device_scalarIfEENS8_IdEENS8_IS4_EEb,"axG",@progbits,_ZN9rocsparseL12bsrilu0_9_32ILj64ELj64ELj16EfEEv20rocsparse_direction_iPKiS3_PT2_S3_iPiS3_S6_21rocsparse_index_base_imNS_24const_host_device_scalarIfEENS8_IdEENS8_IS4_EEb,comdat
.Lfunc_end3:
	.size	_ZN9rocsparseL12bsrilu0_9_32ILj64ELj64ELj16EfEEv20rocsparse_direction_iPKiS3_PT2_S3_iPiS3_S6_21rocsparse_index_base_imNS_24const_host_device_scalarIfEENS8_IdEENS8_IS4_EEb, .Lfunc_end3-_ZN9rocsparseL12bsrilu0_9_32ILj64ELj64ELj16EfEEv20rocsparse_direction_iPKiS3_PT2_S3_iPiS3_S6_21rocsparse_index_base_imNS_24const_host_device_scalarIfEENS8_IdEENS8_IS4_EEb
                                        ; -- End function
	.set _ZN9rocsparseL12bsrilu0_9_32ILj64ELj64ELj16EfEEv20rocsparse_direction_iPKiS3_PT2_S3_iPiS3_S6_21rocsparse_index_base_imNS_24const_host_device_scalarIfEENS8_IdEENS8_IS4_EEb.num_vgpr, 56
	.set _ZN9rocsparseL12bsrilu0_9_32ILj64ELj64ELj16EfEEv20rocsparse_direction_iPKiS3_PT2_S3_iPiS3_S6_21rocsparse_index_base_imNS_24const_host_device_scalarIfEENS8_IdEENS8_IS4_EEb.num_agpr, 0
	.set _ZN9rocsparseL12bsrilu0_9_32ILj64ELj64ELj16EfEEv20rocsparse_direction_iPKiS3_PT2_S3_iPiS3_S6_21rocsparse_index_base_imNS_24const_host_device_scalarIfEENS8_IdEENS8_IS4_EEb.numbered_sgpr, 82
	.set _ZN9rocsparseL12bsrilu0_9_32ILj64ELj64ELj16EfEEv20rocsparse_direction_iPKiS3_PT2_S3_iPiS3_S6_21rocsparse_index_base_imNS_24const_host_device_scalarIfEENS8_IdEENS8_IS4_EEb.num_named_barrier, 0
	.set _ZN9rocsparseL12bsrilu0_9_32ILj64ELj64ELj16EfEEv20rocsparse_direction_iPKiS3_PT2_S3_iPiS3_S6_21rocsparse_index_base_imNS_24const_host_device_scalarIfEENS8_IdEENS8_IS4_EEb.private_seg_size, 0
	.set _ZN9rocsparseL12bsrilu0_9_32ILj64ELj64ELj16EfEEv20rocsparse_direction_iPKiS3_PT2_S3_iPiS3_S6_21rocsparse_index_base_imNS_24const_host_device_scalarIfEENS8_IdEENS8_IS4_EEb.uses_vcc, 1
	.set _ZN9rocsparseL12bsrilu0_9_32ILj64ELj64ELj16EfEEv20rocsparse_direction_iPKiS3_PT2_S3_iPiS3_S6_21rocsparse_index_base_imNS_24const_host_device_scalarIfEENS8_IdEENS8_IS4_EEb.uses_flat_scratch, 0
	.set _ZN9rocsparseL12bsrilu0_9_32ILj64ELj64ELj16EfEEv20rocsparse_direction_iPKiS3_PT2_S3_iPiS3_S6_21rocsparse_index_base_imNS_24const_host_device_scalarIfEENS8_IdEENS8_IS4_EEb.has_dyn_sized_stack, 0
	.set _ZN9rocsparseL12bsrilu0_9_32ILj64ELj64ELj16EfEEv20rocsparse_direction_iPKiS3_PT2_S3_iPiS3_S6_21rocsparse_index_base_imNS_24const_host_device_scalarIfEENS8_IdEENS8_IS4_EEb.has_recursion, 0
	.set _ZN9rocsparseL12bsrilu0_9_32ILj64ELj64ELj16EfEEv20rocsparse_direction_iPKiS3_PT2_S3_iPiS3_S6_21rocsparse_index_base_imNS_24const_host_device_scalarIfEENS8_IdEENS8_IS4_EEb.has_indirect_call, 0
	.section	.AMDGPU.csdata,"",@progbits
; Kernel info:
; codeLenInByte = 7828
; TotalNumSgprs: 88
; NumVgprs: 56
; NumAgprs: 0
; TotalNumVgprs: 56
; ScratchSize: 0
; MemoryBound: 0
; FloatMode: 240
; IeeeMode: 1
; LDSByteSize: 2176 bytes/workgroup (compile time only)
; SGPRBlocks: 10
; VGPRBlocks: 6
; NumSGPRsForWavesPerEU: 88
; NumVGPRsForWavesPerEU: 56
; AccumOffset: 56
; Occupancy: 8
; WaveLimiterHint : 1
; COMPUTE_PGM_RSRC2:SCRATCH_EN: 0
; COMPUTE_PGM_RSRC2:USER_SGPR: 2
; COMPUTE_PGM_RSRC2:TRAP_HANDLER: 0
; COMPUTE_PGM_RSRC2:TGID_X_EN: 1
; COMPUTE_PGM_RSRC2:TGID_Y_EN: 0
; COMPUTE_PGM_RSRC2:TGID_Z_EN: 0
; COMPUTE_PGM_RSRC2:TIDIG_COMP_CNT: 1
; COMPUTE_PGM_RSRC3_GFX90A:ACCUM_OFFSET: 13
; COMPUTE_PGM_RSRC3_GFX90A:TG_SPLIT: 0
	.section	.text._ZN9rocsparseL12bsrilu0_9_32ILj64ELj64ELj32EfEEv20rocsparse_direction_iPKiS3_PT2_S3_iPiS3_S6_21rocsparse_index_base_imNS_24const_host_device_scalarIfEENS8_IdEENS8_IS4_EEb,"axG",@progbits,_ZN9rocsparseL12bsrilu0_9_32ILj64ELj64ELj32EfEEv20rocsparse_direction_iPKiS3_PT2_S3_iPiS3_S6_21rocsparse_index_base_imNS_24const_host_device_scalarIfEENS8_IdEENS8_IS4_EEb,comdat
	.globl	_ZN9rocsparseL12bsrilu0_9_32ILj64ELj64ELj32EfEEv20rocsparse_direction_iPKiS3_PT2_S3_iPiS3_S6_21rocsparse_index_base_imNS_24const_host_device_scalarIfEENS8_IdEENS8_IS4_EEb ; -- Begin function _ZN9rocsparseL12bsrilu0_9_32ILj64ELj64ELj32EfEEv20rocsparse_direction_iPKiS3_PT2_S3_iPiS3_S6_21rocsparse_index_base_imNS_24const_host_device_scalarIfEENS8_IdEENS8_IS4_EEb
	.p2align	8
	.type	_ZN9rocsparseL12bsrilu0_9_32ILj64ELj64ELj32EfEEv20rocsparse_direction_iPKiS3_PT2_S3_iPiS3_S6_21rocsparse_index_base_imNS_24const_host_device_scalarIfEENS8_IdEENS8_IS4_EEb,@function
_ZN9rocsparseL12bsrilu0_9_32ILj64ELj64ELj32EfEEv20rocsparse_direction_iPKiS3_PT2_S3_iPiS3_S6_21rocsparse_index_base_imNS_24const_host_device_scalarIfEENS8_IdEENS8_IS4_EEb: ; @_ZN9rocsparseL12bsrilu0_9_32ILj64ELj64ELj32EfEEv20rocsparse_direction_iPKiS3_PT2_S3_iPiS3_S6_21rocsparse_index_base_imNS_24const_host_device_scalarIfEENS8_IdEENS8_IS4_EEb
; %bb.0:
	s_load_dword s3, s[0:1], 0x70
	s_load_dwordx2 s[26:27], s[0:1], 0x48
	s_load_dwordx8 s[44:51], s[0:1], 0x50
	s_waitcnt lgkmcnt(0)
	s_bitcmp1_b32 s3, 0
	s_cselect_b64 s[4:5], -1, 0
	s_cmp_eq_u32 s27, 0
	s_cselect_b64 s[6:7], -1, 0
	s_cmp_lg_u32 s27, 0
	s_cselect_b64 s[54:55], -1, 0
	s_or_b64 s[4:5], s[6:7], s[4:5]
	s_xor_b64 s[8:9], s[4:5], -1
	s_and_b64 s[10:11], s[6:7], exec
	s_cselect_b32 s11, 0, s49
	s_cselect_b32 s10, 0, s48
	s_and_b64 vcc, exec, s[4:5]
	s_cbranch_vccnz .LBB4_2
; %bb.1:
	s_load_dword s3, s[46:47], 0x0
	s_mov_b64 s[10:11], s[48:49]
	s_waitcnt lgkmcnt(0)
	v_mov_b32_e32 v17, s3
	s_branch .LBB4_3
.LBB4_2:
	v_mov_b32_e32 v1, s46
	v_cndmask_b32_e64 v17, v1, 0, s[6:7]
.LBB4_3:
	v_cndmask_b32_e64 v1, 0, 1, s[8:9]
	v_cmp_ne_u32_e64 s[4:5], 1, v1
	s_andn2_b64 vcc, exec, s[8:9]
	v_mov_b64_e32 v[2:3], s[10:11]
	s_cbranch_vccnz .LBB4_5
; %bb.4:
	v_mov_b64_e32 v[2:3], s[48:49]
	flat_load_dwordx2 v[2:3], v[2:3]
.LBB4_5:
	s_and_b64 vcc, exec, s[4:5]
	s_mov_b32 s3, 0
	s_cbranch_vccnz .LBB4_7
; %bb.6:
	s_load_dword s4, s[50:51], 0x0
	s_waitcnt lgkmcnt(0)
	v_mov_b32_e32 v16, s4
	s_branch .LBB4_8
.LBB4_7:
	v_mov_b32_e32 v1, s50
	v_cndmask_b32_e64 v16, v1, 0, s[6:7]
.LBB4_8:
	s_load_dwordx4 s[28:31], s[0:1], 0x30
	s_load_dwordx2 s[34:35], s[0:1], 0x40
	s_lshl_b64 s[2:3], s[2:3], 2
	s_waitcnt lgkmcnt(0)
	s_add_u32 s2, s30, s2
	s_addc_u32 s3, s31, s3
	s_load_dword s30, s[2:3], 0x0
	s_load_dwordx8 s[36:43], s[0:1], 0x8
	s_waitcnt lgkmcnt(0)
	s_ashr_i32 s31, s30, 31
	s_lshl_b64 s[46:47], s[30:31], 2
	s_add_u32 s2, s42, s46
	s_addc_u32 s3, s43, s47
	s_load_dword s50, s[2:3], 0x0
	s_waitcnt lgkmcnt(0)
	s_cmp_eq_u32 s50, -1
	s_cbranch_scc1 .LBB4_145
; %bb.9:
	s_add_u32 s2, s36, s46
	s_addc_u32 s3, s37, s47
	s_load_dwordx2 s[4:5], s[2:3], 0x0
	s_load_dwordx2 s[52:53], s[0:1], 0x0
	s_load_dword s27, s[0:1], 0x28
	s_mov_b64 s[48:49], 0
	s_waitcnt lgkmcnt(0)
	s_sub_i32 s56, s4, s26
	s_sub_i32 s31, s5, s26
	s_cmp_ge_i32 s56, s50
	s_cbranch_scc1 .LBB4_127
; %bb.10:
	v_bfe_u32 v4, v0, 10, 10
	v_and_b32_e32 v18, 0x3ff, v0
	v_lshlrev_b32_e32 v1, 5, v4
	s_cmp_lg_u32 s52, 0
	v_add3_u32 v6, v1, v18, s56
	v_xad_u32 v1, v4, -1, s27
	s_cselect_b64 s[58:59], -1, 0
	s_cmp_eq_u32 s52, 0
	v_lshrrev_b32_e32 v5, 1, v1
	s_cselect_b64 s[6:7], -1, 0
	s_cmp_gt_i32 s27, 0
	v_add_u32_e32 v10, 1, v5
	s_mul_i32 s16, s27, s56
	s_cselect_b64 s[60:61], -1, 0
	s_add_i32 s33, s53, 1
	v_lshlrev_b32_e32 v21, 2, v18
	v_cmp_lt_u32_e64 s[12:13], 1, v1
	v_and_b32_e32 v22, -2, v10
	s_movk_i32 s53, 0x84
	v_add_u32_e32 v1, s16, v18
	v_ashrrev_i32_e32 v7, 31, v6
	v_lshl_add_u32 v23, v22, 1, v4
	v_add_u32_e32 v24, 0x1080, v21
	v_mad_u32_u24 v27, v4, s53, v21
	v_mul_lo_u32 v29, s27, v1
	v_mbcnt_lo_u32_b32 v1, -1, 0
	v_cmp_gt_i32_e64 s[0:1], s27, v18
	v_cmp_le_i32_e64 s[2:3], s27, v18
	v_cmp_gt_i32_e64 s[4:5], s27, v4
	v_cmp_eq_u32_e64 s[8:9], 0, v4
	v_add_u32_e32 v19, 1, v4
	v_cmp_gt_i32_e64 s[10:11], s31, v6
	v_lshl_add_u64 v[8:9], v[6:7], 2, s[38:39]
	v_add_u32_e32 v7, 3, v4
	v_sub_u32_e32 v20, -2, v4
	s_mov_b32 s51, s27
	v_add_u32_e32 v5, 2, v4
	v_cmp_ne_u32_e64 s[14:15], v10, v22
	v_mad_u32_u24 v25, v4, s53, v24
	v_mul_u32_u24_e32 v26, 0x84, v4
	v_add_u32_e32 v28, 0x1080, v27
	s_mul_i32 s72, s27, s27
	s_lshl_b32 s73, s27, 5
	v_add_u32_e32 v30, 0x1104, v27
	v_mad_u32_u24 v31, v4, s53, s53
	v_mov_b32_e32 v32, 0
	v_mul_lo_u32 v33, v23, s53
	s_movk_i32 s74, 0x108
	v_mbcnt_hi_u32_b32 v34, -1, v1
	s_branch .LBB4_13
.LBB4_11:                               ;   in Loop: Header=BB4_13 Depth=1
	s_mov_b64 s[48:49], -1
.LBB4_12:                               ;   in Loop: Header=BB4_13 Depth=1
	s_add_i32 s56, s56, 1
	s_cmp_lt_i32 s56, s50
	s_cselect_b64 s[18:19], -1, 0
	s_and_b64 s[16:17], s[16:17], s[18:19]
	v_add_u32_e32 v29, s72, v29
	s_and_b64 vcc, exec, s[16:17]
	s_cbranch_vccz .LBB4_127
.LBB4_13:                               ; =>This Loop Header: Depth=1
                                        ;     Child Loop BB4_16 Depth 2
                                        ;       Child Loop BB4_19 Depth 3
                                        ;       Child Loop BB4_26 Depth 3
                                        ;     Child Loop BB4_32 Depth 2
                                        ;     Child Loop BB4_36 Depth 2
                                        ;       Child Loop BB4_39 Depth 3
                                        ;       Child Loop BB4_46 Depth 3
                                        ;     Child Loop BB4_53 Depth 2
                                        ;       Child Loop BB4_56 Depth 3
                                        ;         Child Loop BB4_61 Depth 4
                                        ;         Child Loop BB4_65 Depth 4
                                        ;     Child Loop BB4_69 Depth 2
                                        ;       Child Loop BB4_72 Depth 3
                                        ;       Child Loop BB4_79 Depth 3
                                        ;     Child Loop BB4_88 Depth 2
                                        ;       Child Loop BB4_93 Depth 3
                                        ;       Child Loop BB4_102 Depth 3
                                        ;         Child Loop BB4_105 Depth 4
                                        ;         Child Loop BB4_112 Depth 4
                                        ;       Child Loop BB4_118 Depth 3
                                        ;         Child Loop BB4_121 Depth 4
                                        ;           Child Loop BB4_122 Depth 5
	s_ashr_i32 s57, s56, 31
	s_lshl_b64 s[16:17], s[56:57], 2
	s_add_u32 s16, s38, s16
	s_addc_u32 s17, s39, s17
	global_load_dword v1, v32, s[16:17]
	s_waitcnt vmcnt(0)
	v_readfirstlane_b32 s57, v1
	s_and_saveexec_b64 s[16:17], s[0:1]
	s_cbranch_execz .LBB4_30
; %bb.14:                               ;   in Loop: Header=BB4_13 Depth=1
	s_mul_i32 s64, s56, s27
	s_mov_b32 s65, s64
	s_mov_b64 s[18:19], 0
	v_mov_b32_e32 v11, v24
	v_mov_b32_e32 v35, v29
	;; [unrolled: 1-line block ×4, first 2 shown]
	s_branch .LBB4_16
.LBB4_15:                               ;   in Loop: Header=BB4_16 Depth=2
	s_or_b64 exec, exec, s[20:21]
	v_add_u32_e32 v10, 32, v10
	v_cmp_le_i32_e32 vcc, s27, v10
	v_add_u32_e32 v36, 0x80, v36
	v_add_u32_e32 v35, s73, v35
	s_or_b64 s[18:19], vcc, s[18:19]
	v_add_u32_e32 v11, 0x80, v11
	s_andn2_b64 exec, exec, s[18:19]
	s_cbranch_execz .LBB4_30
.LBB4_16:                               ;   Parent Loop BB4_13 Depth=1
                                        ; =>  This Loop Header: Depth=2
                                        ;       Child Loop BB4_19 Depth 3
                                        ;       Child Loop BB4_26 Depth 3
	s_and_saveexec_b64 s[20:21], s[4:5]
	s_cbranch_execz .LBB4_15
; %bb.17:                               ;   in Loop: Header=BB4_16 Depth=2
	s_mov_b64 s[24:25], -1
	v_mov_b32_e32 v1, v4
	v_mov_b32_e32 v12, v26
	s_and_saveexec_b64 s[22:23], s[12:13]
	s_cbranch_execz .LBB4_23
; %bb.18:                               ;   in Loop: Header=BB4_16 Depth=2
	v_add_u32_e32 v1, s64, v10
	v_mul_lo_u32 v12, v1, s27
	v_mov_b32_e32 v1, v12
	s_mov_b64 s[24:25], 0
	v_mov_b32_e32 v13, v22
	v_mov_b32_e32 v37, v36
	v_mov_b64_e32 v[14:15], v[4:5]
.LBB4_19:                               ;   Parent Loop BB4_13 Depth=1
                                        ;     Parent Loop BB4_16 Depth=2
                                        ; =>    This Inner Loop Header: Depth=3
	v_add_u32_e32 v40, s64, v14
	v_add_u32_e32 v38, s65, v15
	;; [unrolled: 1-line block ×4, first 2 shown]
	v_mad_u64_u32 v[38:39], s[62:63], v38, s51, v[10:11]
	v_mad_u64_u32 v[40:41], s[62:63], v40, s27, v[10:11]
	v_cndmask_b32_e64 v40, v40, v43, s[6:7]
	v_cndmask_b32_e64 v38, v38, v42, s[6:7]
	v_ashrrev_i32_e32 v39, 31, v38
	v_ashrrev_i32_e32 v41, 31, v40
	v_lshl_add_u64 v[40:41], v[40:41], 2, s[40:41]
	v_lshl_add_u64 v[38:39], v[38:39], 2, s[40:41]
	global_load_dword v40, v[40:41], off
	s_nop 0
	global_load_dword v38, v[38:39], off
	v_add_u32_e32 v13, -2, v13
	v_cmp_eq_u32_e32 vcc, 0, v13
	v_add_u32_e32 v15, 4, v15
	v_add_u32_e32 v14, 4, v14
	s_or_b64 s[24:25], vcc, s[24:25]
	s_waitcnt vmcnt(0)
	ds_write2_b32 v37, v40, v38 offset1:66
	v_add_u32_e32 v37, 0x210, v37
	s_andn2_b64 exec, exec, s[24:25]
	s_cbranch_execnz .LBB4_19
; %bb.20:                               ;   in Loop: Header=BB4_16 Depth=2
	s_or_b64 exec, exec, s[24:25]
	s_mov_b64 s[24:25], 0
	s_and_saveexec_b64 s[62:63], s[14:15]
; %bb.21:                               ;   in Loop: Header=BB4_16 Depth=2
	s_mov_b64 s[24:25], exec
; %bb.22:                               ;   in Loop: Header=BB4_16 Depth=2
	s_or_b64 exec, exec, s[62:63]
	s_orn2_b64 s[24:25], s[24:25], exec
	v_mov_b32_e32 v1, v23
	v_mov_b32_e32 v12, v33
.LBB4_23:                               ;   in Loop: Header=BB4_16 Depth=2
	s_or_b64 exec, exec, s[22:23]
	s_and_b64 exec, exec, s[24:25]
	s_cbranch_execz .LBB4_15
; %bb.24:                               ;   in Loop: Header=BB4_16 Depth=2
	v_add_u32_e32 v14, v11, v12
	s_mov_b64 s[22:23], 0
	s_branch .LBB4_26
.LBB4_25:                               ;   in Loop: Header=BB4_26 Depth=3
	v_ashrrev_i32_e32 v13, 31, v12
	v_lshl_add_u64 v[12:13], v[12:13], 2, s[40:41]
	global_load_dword v12, v[12:13], off
	v_add_u32_e32 v1, 2, v1
	v_cmp_le_i32_e32 vcc, s27, v1
	s_or_b64 s[22:23], vcc, s[22:23]
	s_waitcnt vmcnt(0)
	ds_write_b32 v14, v12
	v_add_u32_e32 v14, 0x108, v14
	s_andn2_b64 exec, exec, s[22:23]
	s_cbranch_execz .LBB4_15
.LBB4_26:                               ;   Parent Loop BB4_13 Depth=1
                                        ;     Parent Loop BB4_16 Depth=2
                                        ; =>    This Inner Loop Header: Depth=3
	s_mov_b64 s[24:25], -1
	s_and_b64 vcc, exec, s[58:59]
                                        ; implicit-def: $vgpr12
	s_cbranch_vccz .LBB4_28
; %bb.27:                               ;   in Loop: Header=BB4_26 Depth=3
	v_add_u32_e32 v12, s64, v1
	v_mad_u64_u32 v[12:13], s[24:25], v12, s27, v[10:11]
	s_mov_b64 s[24:25], 0
.LBB4_28:                               ;   in Loop: Header=BB4_26 Depth=3
	s_andn2_b64 vcc, exec, s[24:25]
	s_cbranch_vccnz .LBB4_25
; %bb.29:                               ;   in Loop: Header=BB4_26 Depth=3
	v_add_u32_e32 v12, v35, v1
	s_branch .LBB4_25
.LBB4_30:                               ;   in Loop: Header=BB4_13 Depth=1
	s_or_b64 exec, exec, s[16:17]
	s_sub_i32 s16, s57, s26
	s_ashr_i32 s17, s16, 31
	s_lshl_b64 s[18:19], s[16:17], 2
	s_add_u32 s16, s42, s18
	s_addc_u32 s17, s43, s19
	global_load_dword v1, v32, s[16:17]
	s_waitcnt vmcnt(0)
	v_cmp_eq_u32_e32 vcc, -1, v1
	v_readfirstlane_b32 s57, v1
	v_cmp_ne_u32_e64 s[16:17], -1, v1
	s_cbranch_vccnz .LBB4_11
; %bb.31:                               ;   in Loop: Header=BB4_13 Depth=1
	s_add_u32 s20, s36, s18
	s_addc_u32 s21, s37, s19
	global_load_dword v1, v32, s[20:21] offset:4
	s_add_u32 s18, s28, s18
	s_addc_u32 s19, s29, s19
	s_waitcnt vmcnt(0)
	v_readfirstlane_b32 s75, v1
.LBB4_32:                               ;   Parent Loop BB4_13 Depth=1
                                        ; =>  This Inner Loop Header: Depth=2
	global_load_dword v1, v32, s[18:19] sc1
	s_waitcnt vmcnt(0)
	v_cmp_eq_u32_e32 vcc, 0, v1
	s_cbranch_vccnz .LBB4_32
; %bb.33:                               ;   in Loop: Header=BB4_13 Depth=1
	s_waitcnt lgkmcnt(0)
	buffer_inv sc1
	s_and_saveexec_b64 s[18:19], s[0:1]
	s_cbranch_execz .LBB4_50
; %bb.34:                               ;   in Loop: Header=BB4_13 Depth=1
	s_mul_i32 s66, s57, s27
	v_add_u32_e32 v1, s66, v18
	s_mov_b32 s67, s66
	v_mul_lo_u32 v11, s27, v1
	s_mov_b64 s[20:21], 0
	v_mov_b32_e32 v35, v21
	v_mov_b32_e32 v36, v27
	;; [unrolled: 1-line block ×3, first 2 shown]
	s_branch .LBB4_36
.LBB4_35:                               ;   in Loop: Header=BB4_36 Depth=2
	s_or_b64 exec, exec, s[22:23]
	v_add_u32_e32 v10, 32, v10
	v_cmp_le_i32_e32 vcc, s27, v10
	v_add_u32_e32 v36, 0x80, v36
	v_add_u32_e32 v11, s73, v11
	s_or_b64 s[20:21], vcc, s[20:21]
	v_add_u32_e32 v35, 0x80, v35
	s_andn2_b64 exec, exec, s[20:21]
	s_cbranch_execz .LBB4_50
.LBB4_36:                               ;   Parent Loop BB4_13 Depth=1
                                        ; =>  This Loop Header: Depth=2
                                        ;       Child Loop BB4_39 Depth 3
                                        ;       Child Loop BB4_46 Depth 3
	s_and_saveexec_b64 s[22:23], s[4:5]
	s_cbranch_execz .LBB4_35
; %bb.37:                               ;   in Loop: Header=BB4_36 Depth=2
	s_mov_b64 s[62:63], -1
	v_mov_b32_e32 v1, v4
	v_mov_b32_e32 v12, v26
	s_and_saveexec_b64 s[24:25], s[12:13]
	s_cbranch_execz .LBB4_43
; %bb.38:                               ;   in Loop: Header=BB4_36 Depth=2
	v_add_u32_e32 v1, s66, v10
	v_mul_lo_u32 v12, v1, s27
	v_mov_b32_e32 v1, v12
	s_mov_b64 s[62:63], 0
	v_mov_b32_e32 v13, v22
	v_mov_b32_e32 v37, v36
	v_mov_b64_e32 v[14:15], v[4:5]
.LBB4_39:                               ;   Parent Loop BB4_13 Depth=1
                                        ;     Parent Loop BB4_36 Depth=2
                                        ; =>    This Inner Loop Header: Depth=3
	v_add_u32_e32 v40, s66, v14
	v_add_u32_e32 v38, s67, v15
	;; [unrolled: 1-line block ×4, first 2 shown]
	v_mad_u64_u32 v[38:39], s[64:65], v38, s51, v[10:11]
	v_mad_u64_u32 v[40:41], s[64:65], v40, s27, v[10:11]
	v_cndmask_b32_e64 v40, v40, v43, s[6:7]
	v_cndmask_b32_e64 v38, v38, v42, s[6:7]
	v_ashrrev_i32_e32 v39, 31, v38
	v_ashrrev_i32_e32 v41, 31, v40
	v_lshl_add_u64 v[40:41], v[40:41], 2, s[40:41]
	v_lshl_add_u64 v[38:39], v[38:39], 2, s[40:41]
	global_load_dword v40, v[40:41], off
	s_nop 0
	global_load_dword v38, v[38:39], off
	v_add_u32_e32 v13, -2, v13
	v_cmp_eq_u32_e32 vcc, 0, v13
	v_add_u32_e32 v15, 4, v15
	v_add_u32_e32 v14, 4, v14
	s_or_b64 s[62:63], vcc, s[62:63]
	s_waitcnt vmcnt(0)
	ds_write2_b32 v37, v40, v38 offset1:66
	v_add_u32_e32 v37, 0x210, v37
	s_andn2_b64 exec, exec, s[62:63]
	s_cbranch_execnz .LBB4_39
; %bb.40:                               ;   in Loop: Header=BB4_36 Depth=2
	s_or_b64 exec, exec, s[62:63]
	s_mov_b64 s[62:63], 0
	s_and_saveexec_b64 s[64:65], s[14:15]
; %bb.41:                               ;   in Loop: Header=BB4_36 Depth=2
	s_mov_b64 s[62:63], exec
; %bb.42:                               ;   in Loop: Header=BB4_36 Depth=2
	s_or_b64 exec, exec, s[64:65]
	s_orn2_b64 s[62:63], s[62:63], exec
	v_mov_b32_e32 v1, v23
	v_mov_b32_e32 v12, v33
.LBB4_43:                               ;   in Loop: Header=BB4_36 Depth=2
	s_or_b64 exec, exec, s[24:25]
	s_and_b64 exec, exec, s[62:63]
	s_cbranch_execz .LBB4_35
; %bb.44:                               ;   in Loop: Header=BB4_36 Depth=2
	v_add_u32_e32 v14, v35, v12
	s_mov_b64 s[24:25], 0
	s_branch .LBB4_46
.LBB4_45:                               ;   in Loop: Header=BB4_46 Depth=3
	v_ashrrev_i32_e32 v13, 31, v12
	v_lshl_add_u64 v[12:13], v[12:13], 2, s[40:41]
	global_load_dword v12, v[12:13], off
	v_add_u32_e32 v1, 2, v1
	v_cmp_le_i32_e32 vcc, s27, v1
	s_or_b64 s[24:25], vcc, s[24:25]
	s_waitcnt vmcnt(0)
	ds_write_b32 v14, v12
	v_add_u32_e32 v14, 0x108, v14
	s_andn2_b64 exec, exec, s[24:25]
	s_cbranch_execz .LBB4_35
.LBB4_46:                               ;   Parent Loop BB4_13 Depth=1
                                        ;     Parent Loop BB4_36 Depth=2
                                        ; =>    This Inner Loop Header: Depth=3
	s_mov_b64 s[62:63], -1
	s_and_b64 vcc, exec, s[58:59]
                                        ; implicit-def: $vgpr12
	s_cbranch_vccz .LBB4_48
; %bb.47:                               ;   in Loop: Header=BB4_46 Depth=3
	v_add_u32_e32 v12, s66, v1
	v_mad_u64_u32 v[12:13], s[62:63], v12, s27, v[10:11]
	s_mov_b64 s[62:63], 0
.LBB4_48:                               ;   in Loop: Header=BB4_46 Depth=3
	s_andn2_b64 vcc, exec, s[62:63]
	s_cbranch_vccnz .LBB4_45
; %bb.49:                               ;   in Loop: Header=BB4_46 Depth=3
	v_add_u32_e32 v12, v11, v1
	s_branch .LBB4_45
.LBB4_50:                               ;   in Loop: Header=BB4_13 Depth=1
	s_or_b64 exec, exec, s[18:19]
	s_andn2_b64 vcc, exec, s[60:61]
	s_waitcnt lgkmcnt(0)
	s_cbranch_vccnz .LBB4_66
; %bb.51:                               ;   in Loop: Header=BB4_13 Depth=1
	s_mov_b32 s76, 0
	v_mov_b32_e32 v1, v20
	v_mov_b32_e32 v12, v7
	;; [unrolled: 1-line block ×4, first 2 shown]
	s_mov_b32 s77, 0
	s_branch .LBB4_53
.LBB4_52:                               ;   in Loop: Header=BB4_53 Depth=2
	s_or_b64 exec, exec, s[62:63]
	s_add_i32 s77, s77, 1
	s_add_i32 s76, s76, 4
	v_add_u32_e32 v14, 0x84, v14
	v_add_u32_e32 v13, 0x88, v13
	;; [unrolled: 1-line block ×3, first 2 shown]
	s_cmp_eq_u32 s77, s27
	v_add_u32_e32 v1, -1, v1
	s_waitcnt lgkmcnt(0)
	s_cbranch_scc1 .LBB4_66
.LBB4_53:                               ;   Parent Loop BB4_13 Depth=1
                                        ; =>  This Loop Header: Depth=2
                                        ;       Child Loop BB4_56 Depth 3
                                        ;         Child Loop BB4_61 Depth 4
                                        ;         Child Loop BB4_65 Depth 4
	s_and_saveexec_b64 s[62:63], s[0:1]
	s_cbranch_execz .LBB4_52
; %bb.54:                               ;   in Loop: Header=BB4_53 Depth=2
	v_max_i32_e32 v10, s27, v12
	v_add_u32_e32 v10, v10, v1
	v_lshrrev_b32_e32 v10, 1, v10
	v_add_u32_e32 v10, 1, v10
	s_mul_i32 s20, s77, 0x84
	s_lshl_b32 s18, s77, 2
	v_and_b32_e32 v15, -4, v10
	v_add_u32_e32 v10, s77, v7
	s_add_i32 s18, s20, s18
	v_max_i32_e32 v10, s27, v10
	v_subrev_u32_e32 v11, s77, v20
	v_mov_b32_e32 v35, s18
	v_add_u32_e32 v10, v10, v11
	ds_read_b32 v35, v35
	v_lshrrev_b32_e32 v11, 1, v10
	v_add_u32_e32 v40, 1, v11
	s_add_i32 s78, s20, 0x1080
	v_add_u32_e32 v37, s20, v25
	v_cmp_gt_u32_e64 s[20:21], 34, v10
	v_mul_hi_u32 v10, v11, s74
	v_add_u32_e32 v36, s77, v19
	v_cmp_ne_u32_e64 s[22:23], 0, v10
	v_and_b32_e32 v10, -4, v40
	v_cmp_gt_i32_e64 s[18:19], s27, v36
	v_mul_lo_u32 v38, v11, s74
	s_mov_b32 s79, 0
	v_lshl_add_u32 v39, v10, 1, v36
	v_cmp_ne_u32_e64 s[24:25], v40, v10
	s_mov_b64 s[64:65], 0
	v_mov_b32_e32 v40, v24
	v_mov_b32_e32 v41, v14
	;; [unrolled: 1-line block ×3, first 2 shown]
	s_branch .LBB4_56
.LBB4_55:                               ;   in Loop: Header=BB4_56 Depth=3
	s_or_b64 exec, exec, s[66:67]
	v_add_u32_e32 v42, 32, v42
	s_add_i32 s79, s79, 1
	v_cmp_le_i32_e32 vcc, s27, v42
	v_add_u32_e32 v41, 0x80, v41
	s_or_b64 s[64:65], vcc, s[64:65]
	v_add_u32_e32 v40, 0x80, v40
	s_andn2_b64 exec, exec, s[64:65]
	s_cbranch_execz .LBB4_52
.LBB4_56:                               ;   Parent Loop BB4_13 Depth=1
                                        ;     Parent Loop BB4_53 Depth=2
                                        ; =>    This Loop Header: Depth=3
                                        ;         Child Loop BB4_61 Depth 4
                                        ;         Child Loop BB4_65 Depth 4
	v_lshl_add_u32 v10, v42, 2, s78
	ds_read_b32 v11, v10
	s_waitcnt lgkmcnt(0)
	v_div_scale_f32 v43, s[66:67], v35, v35, v11
	v_rcp_f32_e32 v44, v43
	v_div_scale_f32 v45, vcc, v11, v35, v11
	v_fma_f32 v46, -v43, v44, 1.0
	v_fmac_f32_e32 v44, v46, v44
	v_mul_f32_e32 v46, v45, v44
	v_fma_f32 v47, -v43, v46, v45
	v_fmac_f32_e32 v46, v47, v44
	v_fma_f32 v43, -v43, v46, v45
	v_div_fmas_f32 v43, v43, v44, v46
	v_div_fixup_f32 v43, v43, v35, v11
	s_and_saveexec_b64 s[66:67], s[8:9]
; %bb.57:                               ;   in Loop: Header=BB4_56 Depth=3
	ds_write_b32 v10, v43
; %bb.58:                               ;   in Loop: Header=BB4_56 Depth=3
	s_or_b64 exec, exec, s[66:67]
	s_and_saveexec_b64 s[66:67], s[18:19]
	s_cbranch_execz .LBB4_55
; %bb.59:                               ;   in Loop: Header=BB4_56 Depth=3
	v_lshl_add_u32 v10, s79, 7, v37
	v_add_u32_e32 v10, 0x84, v10
	v_add_u32_e32 v11, v10, v38
	v_cmp_lt_u32_e32 vcc, v11, v10
	s_or_b64 s[68:69], vcc, s[22:23]
	s_nor_b64 s[80:81], s[20:21], s[68:69]
	s_mov_b64 s[70:71], -1
	v_mov_b32_e32 v10, v36
	s_and_saveexec_b64 s[68:69], s[80:81]
	s_cbranch_execz .LBB4_63
; %bb.60:                               ;   in Loop: Header=BB4_56 Depth=3
	v_xor_b32_e32 v10, 0x80000000, v43
	v_mov_b32_e32 v11, v10
	s_mov_b64 s[70:71], 0
	v_mov_b32_e32 v44, v15
	v_mov_b32_e32 v45, v13
	v_mov_b32_e32 v46, v41
.LBB4_61:                               ;   Parent Loop BB4_13 Depth=1
                                        ;     Parent Loop BB4_53 Depth=2
                                        ;       Parent Loop BB4_56 Depth=3
                                        ; =>      This Inner Loop Header: Depth=4
	ds_read2_b32 v[48:49], v45 offset1:66
	ds_read2_b32 v[50:51], v45 offset0:132 offset1:198
	ds_read2_b32 v[52:53], v46 offset1:66
	ds_read2_b32 v[54:55], v46 offset0:132 offset1:198
	v_add_u32_e32 v44, -4, v44
	v_cmp_eq_u32_e32 vcc, 0, v44
	s_or_b64 s[70:71], vcc, s[70:71]
	s_waitcnt lgkmcnt(1)
	v_pk_fma_f32 v[48:49], v[10:11], v[48:49], v[52:53]
	s_waitcnt lgkmcnt(0)
	v_pk_fma_f32 v[50:51], v[10:11], v[50:51], v[54:55]
	ds_write2_b32 v46, v48, v49 offset1:66
	ds_write2_b32 v46, v50, v51 offset0:132 offset1:198
	v_add_u32_e32 v46, 0x420, v46
	v_add_u32_e32 v45, 0x420, v45
	s_andn2_b64 exec, exec, s[70:71]
	s_cbranch_execnz .LBB4_61
; %bb.62:                               ;   in Loop: Header=BB4_56 Depth=3
	s_or_b64 exec, exec, s[70:71]
	s_orn2_b64 s[70:71], s[24:25], exec
	v_mov_b32_e32 v10, v39
.LBB4_63:                               ;   in Loop: Header=BB4_56 Depth=3
	s_or_b64 exec, exec, s[68:69]
	s_and_b64 exec, exec, s[70:71]
	s_cbranch_execz .LBB4_55
; %bb.64:                               ;   in Loop: Header=BB4_56 Depth=3
	v_mul_lo_u32 v44, v10, s53
	v_add_u32_e32 v11, v40, v44
	v_add_u32_e32 v44, s76, v44
	s_mov_b64 s[68:69], 0
.LBB4_65:                               ;   Parent Loop BB4_13 Depth=1
                                        ;     Parent Loop BB4_53 Depth=2
                                        ;       Parent Loop BB4_56 Depth=3
                                        ; =>      This Inner Loop Header: Depth=4
	ds_read_b32 v45, v44
	ds_read_b32 v46, v11
	v_add_u32_e32 v10, 2, v10
	v_cmp_le_i32_e32 vcc, s27, v10
	s_or_b64 s[68:69], vcc, s[68:69]
	v_add_u32_e32 v44, 0x108, v44
	s_waitcnt lgkmcnt(0)
	v_fma_f32 v45, -v43, v45, v46
	ds_write_b32 v11, v45
	v_add_u32_e32 v11, 0x108, v11
	s_andn2_b64 exec, exec, s[68:69]
	s_cbranch_execnz .LBB4_65
	s_branch .LBB4_55
.LBB4_66:                               ;   in Loop: Header=BB4_13 Depth=1
	s_and_saveexec_b64 s[18:19], s[0:1]
	s_cbranch_execz .LBB4_83
; %bb.67:                               ;   in Loop: Header=BB4_13 Depth=1
	s_mul_i32 s66, s56, s27
	s_mov_b32 s67, s66
	s_mov_b64 s[20:21], 0
	v_mov_b32_e32 v11, v24
	v_mov_b32_e32 v35, v29
	;; [unrolled: 1-line block ×4, first 2 shown]
	s_branch .LBB4_69
.LBB4_68:                               ;   in Loop: Header=BB4_69 Depth=2
	s_or_b64 exec, exec, s[22:23]
	v_add_u32_e32 v10, 32, v10
	v_cmp_le_i32_e32 vcc, s27, v10
	v_add_u32_e32 v36, 0x80, v36
	v_add_u32_e32 v35, s73, v35
	s_or_b64 s[20:21], vcc, s[20:21]
	v_add_u32_e32 v11, 0x80, v11
	s_andn2_b64 exec, exec, s[20:21]
	s_cbranch_execz .LBB4_83
.LBB4_69:                               ;   Parent Loop BB4_13 Depth=1
                                        ; =>  This Loop Header: Depth=2
                                        ;       Child Loop BB4_72 Depth 3
                                        ;       Child Loop BB4_79 Depth 3
	s_and_saveexec_b64 s[22:23], s[4:5]
	s_cbranch_execz .LBB4_68
; %bb.70:                               ;   in Loop: Header=BB4_69 Depth=2
	s_mov_b64 s[62:63], -1
	v_mov_b32_e32 v1, v4
	v_mov_b32_e32 v12, v26
	s_and_saveexec_b64 s[24:25], s[12:13]
	s_cbranch_execz .LBB4_76
; %bb.71:                               ;   in Loop: Header=BB4_69 Depth=2
	v_add_u32_e32 v1, s66, v10
	v_mul_lo_u32 v12, v1, s27
	v_mov_b32_e32 v1, v12
	s_mov_b64 s[62:63], 0
	v_mov_b32_e32 v13, v22
	v_mov_b32_e32 v37, v36
	v_mov_b64_e32 v[14:15], v[4:5]
.LBB4_72:                               ;   Parent Loop BB4_13 Depth=1
                                        ;     Parent Loop BB4_69 Depth=2
                                        ; =>    This Inner Loop Header: Depth=3
	ds_read2_b32 v[38:39], v37 offset1:66
	v_add_u32_e32 v42, s66, v14
	v_add_u32_e32 v40, s67, v15
	;; [unrolled: 1-line block ×3, first 2 shown]
	v_mad_u64_u32 v[42:43], s[64:65], v42, s27, v[10:11]
	v_add_u32_e32 v44, v15, v1
	v_add_u32_e32 v13, -2, v13
	v_mad_u64_u32 v[40:41], s[64:65], v40, s51, v[10:11]
	v_cndmask_b32_e64 v42, v42, v45, s[6:7]
	v_cmp_eq_u32_e32 vcc, 0, v13
	v_cndmask_b32_e64 v40, v40, v44, s[6:7]
	v_ashrrev_i32_e32 v43, 31, v42
	v_add_u32_e32 v15, 4, v15
	v_add_u32_e32 v14, 4, v14
	;; [unrolled: 1-line block ×3, first 2 shown]
	s_or_b64 s[62:63], vcc, s[62:63]
	v_ashrrev_i32_e32 v41, 31, v40
	v_lshl_add_u64 v[42:43], v[42:43], 2, s[40:41]
	v_lshl_add_u64 v[40:41], v[40:41], 2, s[40:41]
	s_waitcnt lgkmcnt(0)
	global_store_dword v[42:43], v38, off
	global_store_dword v[40:41], v39, off
	s_andn2_b64 exec, exec, s[62:63]
	s_cbranch_execnz .LBB4_72
; %bb.73:                               ;   in Loop: Header=BB4_69 Depth=2
	s_or_b64 exec, exec, s[62:63]
	s_mov_b64 s[62:63], 0
                                        ; implicit-def: $vgpr12
	s_and_saveexec_b64 s[64:65], s[14:15]
; %bb.74:                               ;   in Loop: Header=BB4_69 Depth=2
	s_mov_b64 s[62:63], exec
	v_mul_lo_u32 v12, v23, s53
; %bb.75:                               ;   in Loop: Header=BB4_69 Depth=2
	s_or_b64 exec, exec, s[64:65]
	s_orn2_b64 s[62:63], s[62:63], exec
	v_mov_b32_e32 v1, v23
.LBB4_76:                               ;   in Loop: Header=BB4_69 Depth=2
	s_or_b64 exec, exec, s[24:25]
	s_and_b64 exec, exec, s[62:63]
	s_cbranch_execz .LBB4_68
; %bb.77:                               ;   in Loop: Header=BB4_69 Depth=2
	v_add_u32_e32 v14, v11, v12
	s_mov_b64 s[24:25], 0
	s_branch .LBB4_79
.LBB4_78:                               ;   in Loop: Header=BB4_79 Depth=3
	v_add_u32_e32 v1, 2, v1
	v_ashrrev_i32_e32 v13, 31, v12
	v_cmp_le_i32_e32 vcc, s27, v1
	v_lshl_add_u64 v[12:13], v[12:13], 2, s[40:41]
	s_or_b64 s[24:25], vcc, s[24:25]
	v_add_u32_e32 v14, 0x108, v14
	s_waitcnt lgkmcnt(0)
	global_store_dword v[12:13], v15, off
	s_andn2_b64 exec, exec, s[24:25]
	s_cbranch_execz .LBB4_68
.LBB4_79:                               ;   Parent Loop BB4_13 Depth=1
                                        ;     Parent Loop BB4_69 Depth=2
                                        ; =>    This Inner Loop Header: Depth=3
	ds_read_b32 v15, v14
	s_mov_b64 s[62:63], -1
	s_and_b64 vcc, exec, s[58:59]
                                        ; implicit-def: $vgpr12
	s_cbranch_vccz .LBB4_81
; %bb.80:                               ;   in Loop: Header=BB4_79 Depth=3
	v_add_u32_e32 v12, s66, v1
	v_mad_u64_u32 v[12:13], s[62:63], v12, s27, v[10:11]
	s_mov_b64 s[62:63], 0
.LBB4_81:                               ;   in Loop: Header=BB4_79 Depth=3
	s_andn2_b64 vcc, exec, s[62:63]
	s_cbranch_vccnz .LBB4_78
; %bb.82:                               ;   in Loop: Header=BB4_79 Depth=3
	v_add_u32_e32 v12, v35, v1
	s_branch .LBB4_78
.LBB4_83:                               ;   in Loop: Header=BB4_13 Depth=1
	s_or_b64 exec, exec, s[18:19]
	s_sub_i32 s68, s75, s26
	s_add_i32 s18, s57, 1
	s_cmp_ge_i32 s18, s68
	s_cbranch_scc1 .LBB4_12
; %bb.84:                               ;   in Loop: Header=BB4_13 Depth=1
	s_mul_i32 s19, s27, s18
	v_add_u32_e32 v1, s19, v18
	v_mul_lo_u32 v35, s27, v1
	s_branch .LBB4_88
.LBB4_85:                               ;   in Loop: Header=BB4_88 Depth=2
	s_or_b64 exec, exec, s[22:23]
.LBB4_86:                               ;   in Loop: Header=BB4_88 Depth=2
	s_or_b64 exec, exec, s[20:21]
.LBB4_87:                               ;   in Loop: Header=BB4_88 Depth=2
	s_add_i32 s18, s18, 1
	s_cmp_lt_i32 s18, s68
	v_add_u32_e32 v35, s72, v35
	s_waitcnt lgkmcnt(0)
	s_cbranch_scc0 .LBB4_12
.LBB4_88:                               ;   Parent Loop BB4_13 Depth=1
                                        ; =>  This Loop Header: Depth=2
                                        ;       Child Loop BB4_93 Depth 3
                                        ;       Child Loop BB4_102 Depth 3
                                        ;         Child Loop BB4_105 Depth 4
                                        ;         Child Loop BB4_112 Depth 4
                                        ;       Child Loop BB4_118 Depth 3
                                        ;         Child Loop BB4_121 Depth 4
                                        ;           Child Loop BB4_122 Depth 5
	s_ashr_i32 s19, s18, 31
	s_lshl_b64 s[20:21], s[18:19], 2
	s_add_u32 s20, s38, s20
	s_addc_u32 s21, s39, s21
	global_load_dword v1, v32, s[20:21]
	v_mov_b32_e32 v11, s33
	s_and_saveexec_b64 s[20:21], s[10:11]
	s_cbranch_execz .LBB4_90
; %bb.89:                               ;   in Loop: Header=BB4_88 Depth=2
	global_load_dword v10, v[8:9], off
	s_waitcnt vmcnt(0)
	v_subrev_u32_e32 v11, s26, v10
.LBB4_90:                               ;   in Loop: Header=BB4_88 Depth=2
	s_or_b64 exec, exec, s[20:21]
	s_waitcnt vmcnt(0)
	v_subrev_u32_e32 v1, s26, v1
	v_cmp_lt_i32_e32 vcc, v11, v1
	v_mov_b32_e32 v12, v6
	s_and_saveexec_b64 s[20:21], vcc
	s_cbranch_execz .LBB4_96
; %bb.91:                               ;   in Loop: Header=BB4_88 Depth=2
	s_mov_b64 s[22:23], 0
	v_mov_b32_e32 v10, v6
	s_branch .LBB4_93
.LBB4_92:                               ;   in Loop: Header=BB4_93 Depth=3
	s_or_b64 exec, exec, s[24:25]
	v_cmp_ge_i32_e32 vcc, v11, v1
	s_or_b64 s[22:23], vcc, s[22:23]
	v_mov_b32_e32 v10, v12
	s_andn2_b64 exec, exec, s[22:23]
	s_cbranch_execz .LBB4_95
.LBB4_93:                               ;   Parent Loop BB4_13 Depth=1
                                        ;     Parent Loop BB4_88 Depth=2
                                        ; =>    This Inner Loop Header: Depth=3
	v_add_u32_e32 v12, 64, v10
	v_cmp_gt_i32_e32 vcc, s31, v12
	v_mov_b32_e32 v11, s33
	s_and_saveexec_b64 s[24:25], vcc
	s_cbranch_execz .LBB4_92
; %bb.94:                               ;   in Loop: Header=BB4_93 Depth=3
	v_ashrrev_i32_e32 v11, 31, v10
	v_lshl_add_u64 v[10:11], v[10:11], 2, s[38:39]
	global_load_dword v10, v[10:11], off offset:256
	s_waitcnt vmcnt(0)
	v_subrev_u32_e32 v11, s26, v10
	s_branch .LBB4_92
.LBB4_95:                               ;   in Loop: Header=BB4_88 Depth=2
	s_or_b64 exec, exec, s[22:23]
.LBB4_96:                               ;   in Loop: Header=BB4_88 Depth=2
	s_or_b64 exec, exec, s[20:21]
	v_cmp_eq_u32_e32 vcc, v11, v1
	s_cbranch_vccz .LBB4_87
; %bb.97:                               ;   in Loop: Header=BB4_88 Depth=2
	s_ff1_i32_b64 s19, vcc
	v_and_or_b32 v1, v34, 64, s19
	v_lshlrev_b32_e32 v1, 2, v1
	ds_bpermute_b32 v11, v1, v12
	s_and_saveexec_b64 s[20:21], s[2:3]
	s_xor_b64 s[20:21], exec, s[20:21]
	s_cbranch_execz .LBB4_99
; %bb.98:                               ;   in Loop: Header=BB4_88 Depth=2
	s_waitcnt lgkmcnt(0)
                                        ; implicit-def: $vgpr11
.LBB4_99:                               ;   in Loop: Header=BB4_88 Depth=2
	s_andn2_saveexec_b64 s[20:21], s[20:21]
	s_cbranch_execz .LBB4_86
; %bb.100:                              ;   in Loop: Header=BB4_88 Depth=2
	s_mul_i32 s19, s18, s27
	s_mov_b32 s57, s19
	s_mov_b64 s[22:23], 0
	v_mov_b32_e32 v36, v21
	v_mov_b32_e32 v37, v35
	;; [unrolled: 1-line block ×4, first 2 shown]
	s_branch .LBB4_102
.LBB4_101:                              ;   in Loop: Header=BB4_102 Depth=3
	s_or_b64 exec, exec, s[24:25]
	v_add_u32_e32 v10, 32, v10
	v_cmp_le_i32_e32 vcc, s27, v10
	v_add_u32_e32 v38, 0x80, v38
	v_add_u32_e32 v37, s73, v37
	s_or_b64 s[22:23], vcc, s[22:23]
	v_add_u32_e32 v36, 0x80, v36
	s_andn2_b64 exec, exec, s[22:23]
	s_cbranch_execz .LBB4_116
.LBB4_102:                              ;   Parent Loop BB4_13 Depth=1
                                        ;     Parent Loop BB4_88 Depth=2
                                        ; =>    This Loop Header: Depth=3
                                        ;         Child Loop BB4_105 Depth 4
                                        ;         Child Loop BB4_112 Depth 4
	s_and_saveexec_b64 s[24:25], s[4:5]
	s_cbranch_execz .LBB4_101
; %bb.103:                              ;   in Loop: Header=BB4_102 Depth=3
	s_mov_b64 s[64:65], -1
	v_mov_b32_e32 v1, v4
	v_mov_b32_e32 v12, v26
	s_and_saveexec_b64 s[62:63], s[12:13]
	s_cbranch_execz .LBB4_109
; %bb.104:                              ;   in Loop: Header=BB4_102 Depth=3
	v_add_u32_e32 v1, s19, v10
	v_mul_lo_u32 v12, v1, s27
	v_mov_b32_e32 v1, v12
	s_mov_b64 s[64:65], 0
	v_mov_b32_e32 v13, v22
	v_mov_b32_e32 v39, v38
	v_mov_b64_e32 v[14:15], v[4:5]
.LBB4_105:                              ;   Parent Loop BB4_13 Depth=1
                                        ;     Parent Loop BB4_88 Depth=2
                                        ;       Parent Loop BB4_102 Depth=3
                                        ; =>      This Inner Loop Header: Depth=4
	v_add_u32_e32 v42, s19, v14
	v_add_u32_e32 v40, s57, v15
	;; [unrolled: 1-line block ×4, first 2 shown]
	s_waitcnt lgkmcnt(0)
	v_mad_u64_u32 v[40:41], s[66:67], v40, s51, v[10:11]
	v_mad_u64_u32 v[42:43], s[66:67], v42, s27, v[10:11]
	v_cndmask_b32_e64 v42, v42, v45, s[6:7]
	v_cndmask_b32_e64 v40, v40, v44, s[6:7]
	v_ashrrev_i32_e32 v41, 31, v40
	v_ashrrev_i32_e32 v43, 31, v42
	v_lshl_add_u64 v[42:43], v[42:43], 2, s[40:41]
	v_lshl_add_u64 v[40:41], v[40:41], 2, s[40:41]
	global_load_dword v42, v[42:43], off
	s_nop 0
	global_load_dword v40, v[40:41], off
	v_add_u32_e32 v13, -2, v13
	v_cmp_eq_u32_e32 vcc, 0, v13
	v_add_u32_e32 v15, 4, v15
	v_add_u32_e32 v14, 4, v14
	s_or_b64 s[64:65], vcc, s[64:65]
	s_waitcnt vmcnt(0)
	ds_write2_b32 v39, v42, v40 offset1:66
	v_add_u32_e32 v39, 0x210, v39
	s_andn2_b64 exec, exec, s[64:65]
	s_cbranch_execnz .LBB4_105
; %bb.106:                              ;   in Loop: Header=BB4_102 Depth=3
	s_or_b64 exec, exec, s[64:65]
	s_mov_b64 s[64:65], 0
                                        ; implicit-def: $vgpr12
	s_and_saveexec_b64 s[66:67], s[14:15]
; %bb.107:                              ;   in Loop: Header=BB4_102 Depth=3
	s_mov_b64 s[64:65], exec
	v_mul_lo_u32 v12, v23, s53
; %bb.108:                              ;   in Loop: Header=BB4_102 Depth=3
	s_or_b64 exec, exec, s[66:67]
	s_orn2_b64 s[64:65], s[64:65], exec
	v_mov_b32_e32 v1, v23
.LBB4_109:                              ;   in Loop: Header=BB4_102 Depth=3
	s_or_b64 exec, exec, s[62:63]
	s_and_b64 exec, exec, s[64:65]
	s_cbranch_execz .LBB4_101
; %bb.110:                              ;   in Loop: Header=BB4_102 Depth=3
	v_add_u32_e32 v14, v36, v12
	s_mov_b64 s[62:63], 0
	s_branch .LBB4_112
.LBB4_111:                              ;   in Loop: Header=BB4_112 Depth=4
	v_ashrrev_i32_e32 v13, 31, v12
	v_lshl_add_u64 v[12:13], v[12:13], 2, s[40:41]
	global_load_dword v12, v[12:13], off
	v_add_u32_e32 v1, 2, v1
	v_cmp_le_i32_e32 vcc, s27, v1
	s_or_b64 s[62:63], vcc, s[62:63]
	s_waitcnt vmcnt(0)
	ds_write_b32 v14, v12
	v_add_u32_e32 v14, 0x108, v14
	s_andn2_b64 exec, exec, s[62:63]
	s_cbranch_execz .LBB4_101
.LBB4_112:                              ;   Parent Loop BB4_13 Depth=1
                                        ;     Parent Loop BB4_88 Depth=2
                                        ;       Parent Loop BB4_102 Depth=3
                                        ; =>      This Inner Loop Header: Depth=4
	s_mov_b64 s[64:65], -1
	s_and_b64 vcc, exec, s[58:59]
                                        ; implicit-def: $vgpr12
	s_cbranch_vccz .LBB4_114
; %bb.113:                              ;   in Loop: Header=BB4_112 Depth=4
	v_add_u32_e32 v12, s19, v1
	s_waitcnt lgkmcnt(0)
	v_mad_u64_u32 v[12:13], s[64:65], v12, s27, v[10:11]
	s_mov_b64 s[64:65], 0
.LBB4_114:                              ;   in Loop: Header=BB4_112 Depth=4
	s_andn2_b64 vcc, exec, s[64:65]
	s_cbranch_vccnz .LBB4_111
; %bb.115:                              ;   in Loop: Header=BB4_112 Depth=4
	v_add_u32_e32 v12, v37, v1
	s_branch .LBB4_111
.LBB4_116:                              ;   in Loop: Header=BB4_88 Depth=2
	s_or_b64 exec, exec, s[22:23]
	s_waitcnt lgkmcnt(0)
	v_mul_lo_u32 v1, v11, s27
	s_mov_b64 s[22:23], 0
	v_mov_b32_e32 v11, v24
	v_mov_b32_e32 v10, v18
	s_branch .LBB4_118
.LBB4_117:                              ;   in Loop: Header=BB4_118 Depth=3
	s_or_b64 exec, exec, s[24:25]
	v_add_u32_e32 v10, 32, v10
	v_cmp_le_i32_e32 vcc, s27, v10
	s_or_b64 s[22:23], vcc, s[22:23]
	v_add_u32_e32 v11, 0x80, v11
	s_andn2_b64 exec, exec, s[22:23]
	s_cbranch_execz .LBB4_85
.LBB4_118:                              ;   Parent Loop BB4_13 Depth=1
                                        ;     Parent Loop BB4_88 Depth=2
                                        ; =>    This Loop Header: Depth=3
                                        ;         Child Loop BB4_121 Depth 4
                                        ;           Child Loop BB4_122 Depth 5
	s_and_saveexec_b64 s[24:25], s[4:5]
	s_cbranch_execz .LBB4_117
; %bb.119:                              ;   in Loop: Header=BB4_118 Depth=3
	v_add_u32_e32 v12, v10, v1
	v_mul_lo_u32 v14, v12, s27
	s_mov_b64 s[62:63], 0
	v_mov_b32_e32 v15, v26
	v_mov_b32_e32 v36, v4
	s_branch .LBB4_121
.LBB4_120:                              ;   in Loop: Header=BB4_121 Depth=4
	v_ashrrev_i32_e32 v13, 31, v12
	v_lshl_add_u64 v[12:13], v[12:13], 2, s[40:41]
	global_load_dword v38, v[12:13], off
	v_add_u32_e32 v36, 2, v36
	v_cmp_le_i32_e32 vcc, s27, v36
	s_or_b64 s[62:63], vcc, s[62:63]
	v_add_u32_e32 v15, 0x108, v15
	s_waitcnt vmcnt(0)
	v_sub_f32_e32 v37, v38, v37
	global_store_dword v[12:13], v37, off
	s_andn2_b64 exec, exec, s[62:63]
	s_cbranch_execz .LBB4_117
.LBB4_121:                              ;   Parent Loop BB4_13 Depth=1
                                        ;     Parent Loop BB4_88 Depth=2
                                        ;       Parent Loop BB4_118 Depth=3
                                        ; =>      This Loop Header: Depth=4
                                        ;           Child Loop BB4_122 Depth 5
	v_mov_b32_e32 v37, 0
	v_mov_b32_e32 v12, v11
	;; [unrolled: 1-line block ×3, first 2 shown]
	s_mov_b32 s19, s27
.LBB4_122:                              ;   Parent Loop BB4_13 Depth=1
                                        ;     Parent Loop BB4_88 Depth=2
                                        ;       Parent Loop BB4_118 Depth=3
                                        ;         Parent Loop BB4_121 Depth=4
                                        ; =>        This Inner Loop Header: Depth=5
	ds_read_b32 v38, v12
	ds_read_b32 v39, v13
	s_add_i32 s19, s19, -1
	v_add_u32_e32 v13, 4, v13
	v_add_u32_e32 v12, 0x84, v12
	s_cmp_eq_u32 s19, 0
	s_waitcnt lgkmcnt(0)
	v_fmac_f32_e32 v37, v38, v39
	s_cbranch_scc0 .LBB4_122
; %bb.123:                              ;   in Loop: Header=BB4_121 Depth=4
	s_mov_b64 s[64:65], -1
	s_and_b64 vcc, exec, s[58:59]
                                        ; implicit-def: $vgpr12
	s_cbranch_vccz .LBB4_125
; %bb.124:                              ;   in Loop: Header=BB4_121 Depth=4
	v_add_u32_e32 v12, v36, v1
	v_mad_u64_u32 v[12:13], s[64:65], v12, s27, v[10:11]
	s_mov_b64 s[64:65], 0
.LBB4_125:                              ;   in Loop: Header=BB4_121 Depth=4
	s_andn2_b64 vcc, exec, s[64:65]
	s_cbranch_vccnz .LBB4_120
; %bb.126:                              ;   in Loop: Header=BB4_121 Depth=4
	v_add_u32_e32 v12, v36, v14
	s_branch .LBB4_120
.LBB4_127:
	s_ashr_i32 s51, s50, 31
	s_lshl_b64 s[0:1], s[50:51], 2
	s_add_u32 s0, s38, s0
	s_addc_u32 s1, s39, s1
	v_mov_b32_e32 v1, 0
	global_load_dword v1, v1, s[0:1]
	s_waitcnt vmcnt(0)
	v_subrev_u32_e32 v1, s26, v1
	v_cmp_ne_u32_e32 vcc, s30, v1
	s_cbranch_vccnz .LBB4_186
; %bb.128:
	v_and_b32_e32 v4, 0x3ff, v0
	v_cmp_gt_i32_e64 s[0:1], s27, v4
	v_lshlrev_b32_e32 v5, 2, v4
	s_and_saveexec_b64 s[10:11], s[0:1]
	s_cbranch_execz .LBB4_146
; %bb.129:
	v_bfe_u32 v6, v0, 10, 10
	v_xad_u32 v1, v6, -1, s27
	v_lshrrev_b32_e32 v7, 1, v1
	v_add_u32_e32 v8, 1, v7
	s_cmp_lg_u32 s52, 0
	s_mul_i32 s24, s50, s27
	v_and_b32_e32 v9, -2, v8
	s_cselect_b64 s[12:13], -1, 0
	s_cmp_eq_u32 s52, 0
	v_cmp_lt_u32_e64 s[6:7], 1, v1
	v_lshl_add_u32 v14, v9, 1, v6
	s_movk_i32 s16, 0x84
	v_lshlrev_b32_e32 v18, 2, v4
	v_add_u32_e32 v1, s24, v4
	v_cmp_gt_u32_e64 s[2:3], s27, v6
	s_cselect_b64 s[4:5], -1, 0
	s_mov_b32 s25, s24
	s_mov_b32 s33, s27
	v_add_u32_e32 v7, 2, v6
	v_cmp_ne_u32_e64 s[8:9], v8, v9
	v_mul_u32_u24_e32 v15, 0x84, v6
	v_mad_u32_u24 v19, v6, s16, v18
	v_mul_lo_u32 v20, s27, v1
	s_lshl_b32 s36, s27, 5
	s_mov_b64 s[14:15], 0
	v_mul_lo_u32 v21, v14, s16
	v_mov_b32_e32 v8, v4
	s_branch .LBB4_131
.LBB4_130:                              ;   in Loop: Header=BB4_131 Depth=1
	s_or_b64 exec, exec, s[16:17]
	v_add_u32_e32 v8, 32, v8
	v_cmp_le_i32_e32 vcc, s27, v8
	v_add_u32_e32 v19, 0x80, v19
	v_add_u32_e32 v20, s36, v20
	s_or_b64 s[14:15], vcc, s[14:15]
	v_add_u32_e32 v18, 0x80, v18
	s_andn2_b64 exec, exec, s[14:15]
	s_cbranch_execz .LBB4_146
.LBB4_131:                              ; =>This Loop Header: Depth=1
                                        ;     Child Loop BB4_134 Depth 2
                                        ;     Child Loop BB4_141 Depth 2
	s_and_saveexec_b64 s[16:17], s[2:3]
	s_cbranch_execz .LBB4_130
; %bb.132:                              ;   in Loop: Header=BB4_131 Depth=1
	s_mov_b64 s[20:21], -1
	v_mov_b32_e32 v1, v6
	v_mov_b32_e32 v10, v15
	s_and_saveexec_b64 s[18:19], s[6:7]
	s_cbranch_execz .LBB4_138
; %bb.133:                              ;   in Loop: Header=BB4_131 Depth=1
	v_add_u32_e32 v1, s24, v8
	v_mul_lo_u32 v10, v1, s27
	v_mov_b32_e32 v1, v10
	s_mov_b64 s[20:21], 0
	v_mov_b32_e32 v11, v9
	v_mov_b32_e32 v22, v19
	v_mov_b64_e32 v[12:13], v[6:7]
.LBB4_134:                              ;   Parent Loop BB4_131 Depth=1
                                        ; =>  This Inner Loop Header: Depth=2
	v_add_u32_e32 v23, s24, v12
	v_add_u32_e32 v24, s25, v13
	;; [unrolled: 1-line block ×3, first 2 shown]
	v_mad_u64_u32 v[26:27], s[22:23], v23, s27, v[8:9]
	v_add_u32_e32 v28, v13, v1
	v_mad_u64_u32 v[24:25], s[22:23], v24, s33, v[8:9]
	v_cndmask_b32_e64 v26, v26, v29, s[4:5]
	v_cndmask_b32_e64 v24, v24, v28, s[4:5]
	v_ashrrev_i32_e32 v27, 31, v26
	v_ashrrev_i32_e32 v25, 31, v24
	v_lshl_add_u64 v[26:27], v[26:27], 2, s[40:41]
	v_lshl_add_u64 v[24:25], v[24:25], 2, s[40:41]
	global_load_dword v23, v[26:27], off
	global_load_dword v28, v[24:25], off
	v_add_u32_e32 v11, -2, v11
	v_cmp_eq_u32_e32 vcc, 0, v11
	v_add_u32_e32 v13, 4, v13
	v_add_u32_e32 v12, 4, v12
	s_or_b64 s[20:21], vcc, s[20:21]
	s_waitcnt vmcnt(0)
	ds_write2_b32 v22, v23, v28 offset1:66
	v_add_u32_e32 v22, 0x210, v22
	s_andn2_b64 exec, exec, s[20:21]
	s_cbranch_execnz .LBB4_134
; %bb.135:                              ;   in Loop: Header=BB4_131 Depth=1
	s_or_b64 exec, exec, s[20:21]
	s_mov_b64 s[20:21], 0
	s_and_saveexec_b64 s[22:23], s[8:9]
; %bb.136:                              ;   in Loop: Header=BB4_131 Depth=1
	s_mov_b64 s[20:21], exec
; %bb.137:                              ;   in Loop: Header=BB4_131 Depth=1
	s_or_b64 exec, exec, s[22:23]
	s_orn2_b64 s[20:21], s[20:21], exec
	v_mov_b32_e32 v1, v14
	v_mov_b32_e32 v10, v21
.LBB4_138:                              ;   in Loop: Header=BB4_131 Depth=1
	s_or_b64 exec, exec, s[18:19]
	s_and_b64 exec, exec, s[20:21]
	s_cbranch_execz .LBB4_130
; %bb.139:                              ;   in Loop: Header=BB4_131 Depth=1
	v_add_u32_e32 v12, v18, v10
	s_mov_b64 s[18:19], 0
	s_branch .LBB4_141
.LBB4_140:                              ;   in Loop: Header=BB4_141 Depth=2
	v_ashrrev_i32_e32 v11, 31, v10
	v_lshl_add_u64 v[10:11], v[10:11], 2, s[40:41]
	global_load_dword v10, v[10:11], off
	v_add_u32_e32 v1, 2, v1
	v_cmp_le_i32_e32 vcc, s27, v1
	s_or_b64 s[18:19], vcc, s[18:19]
	s_waitcnt vmcnt(0)
	ds_write_b32 v12, v10
	v_add_u32_e32 v12, 0x108, v12
	s_andn2_b64 exec, exec, s[18:19]
	s_cbranch_execz .LBB4_130
.LBB4_141:                              ;   Parent Loop BB4_131 Depth=1
                                        ; =>  This Inner Loop Header: Depth=2
	s_mov_b64 s[20:21], -1
	s_and_b64 vcc, exec, s[12:13]
                                        ; implicit-def: $vgpr10
	s_cbranch_vccz .LBB4_143
; %bb.142:                              ;   in Loop: Header=BB4_141 Depth=2
	v_add_u32_e32 v10, s24, v1
	v_mad_u64_u32 v[10:11], s[20:21], v10, s27, v[8:9]
	s_mov_b64 s[20:21], 0
.LBB4_143:                              ;   in Loop: Header=BB4_141 Depth=2
	s_andn2_b64 vcc, exec, s[20:21]
	s_cbranch_vccnz .LBB4_140
; %bb.144:                              ;   in Loop: Header=BB4_141 Depth=2
	v_add_u32_e32 v10, v20, v1
	s_branch .LBB4_140
.LBB4_145:
	s_mov_b64 s[48:49], -1
	s_branch .LBB4_252
.LBB4_146:
	s_or_b64 exec, exec, s[10:11]
	s_cmp_lt_i32 s27, 1
	s_waitcnt lgkmcnt(0)
	s_cbranch_scc1 .LBB4_168
; %bb.147:
	s_cmp_eq_u64 s[44:45], 8
	v_cvt_f64_f32_e32 v[6:7], v17
	s_cselect_b64 vcc, -1, 0
	v_bfe_u32 v1, v0, 10, 10
	v_cndmask_b32_e32 v2, v6, v2, vcc
	v_or_b32_e32 v6, v4, v1
	v_cndmask_b32_e32 v3, v7, v3, vcc
	v_cmp_eq_u32_e64 s[2:3], 0, v6
	s_movk_i32 s6, 0x84
	v_mul_u32_u24_e32 v6, 0x84, v1
	v_lshlrev_b32_e32 v7, 2, v4
	s_movk_i32 s7, 0x88
	v_cndmask_b32_e64 v8, 0, 1, s[54:55]
	s_mov_b32 s18, 0
	v_cmp_eq_u32_e64 s[4:5], 0, v1
	v_add3_u32 v6, v6, v7, s7
	v_mad_u32_u24 v7, v1, s6, s6
	v_cmp_ne_u32_e64 s[6:7], 1, v8
.LBB4_148:                              ; =>This Loop Header: Depth=1
                                        ;     Child Loop BB4_160 Depth 2
                                        ;       Child Loop BB4_164 Depth 3
	s_mul_i32 s19, s18, 0x84
	s_lshl_b32 s8, s18, 2
	s_add_i32 s14, s19, s8
	v_mov_b32_e32 v8, s14
	s_waitcnt lgkmcnt(0)
	ds_read_b32 v9, v8
	s_mov_b64 s[12:13], -1
	s_mov_b64 s[8:9], 0
	s_and_b64 vcc, exec, s[6:7]
	s_mov_b64 s[10:11], 0
                                        ; implicit-def: $vgpr8
	s_cbranch_vccz .LBB4_153
; %bb.149:                              ;   in Loop: Header=BB4_148 Depth=1
	s_andn2_b64 vcc, exec, s[12:13]
	s_cbranch_vccz .LBB4_156
.LBB4_150:                              ;   in Loop: Header=BB4_148 Depth=1
	s_andn2_b64 vcc, exec, s[10:11]
                                        ; implicit-def: $sgpr20
	s_cbranch_vccz .LBB4_157
.LBB4_151:                              ;   in Loop: Header=BB4_148 Depth=1
	s_andn2_b64 vcc, exec, s[8:9]
	s_cbranch_vccz .LBB4_166
.LBB4_152:                              ;   in Loop: Header=BB4_148 Depth=1
	v_add_u32_e32 v6, 0x88, v6
	s_cmp_eq_u32 s20, s27
	v_add_u32_e32 v7, 0x88, v7
	s_cbranch_scc0 .LBB4_167
	s_branch .LBB4_168
.LBB4_153:                              ;   in Loop: Header=BB4_148 Depth=1
	s_waitcnt lgkmcnt(0)
	v_cmp_gt_f32_e32 vcc, 0, v9
	s_nop 1
	v_cndmask_b32_e64 v8, v9, -v9, vcc
	v_cvt_f64_f32_e32 v[10:11], v8
	v_cmp_ge_f64_e32 vcc, v[2:3], v[10:11]
	s_nop 1
	v_cndmask_b32_e32 v8, v9, v16, vcc
	s_and_saveexec_b64 s[10:11], s[2:3]
; %bb.154:                              ;   in Loop: Header=BB4_148 Depth=1
	v_mov_b32_e32 v10, s14
	ds_write_b32 v10, v8
; %bb.155:                              ;   in Loop: Header=BB4_148 Depth=1
	s_or_b64 exec, exec, s[10:11]
	s_mov_b64 s[10:11], -1
	s_cbranch_execnz .LBB4_150
.LBB4_156:                              ;   in Loop: Header=BB4_148 Depth=1
	s_waitcnt lgkmcnt(0)
	v_cmp_neq_f32_e64 s[10:11], 0, v9
	s_mov_b64 s[8:9], -1
	v_mov_b32_e32 v8, v9
	s_andn2_b64 vcc, exec, s[10:11]
                                        ; implicit-def: $sgpr20
	s_cbranch_vccnz .LBB4_151
.LBB4_157:                              ;   in Loop: Header=BB4_148 Depth=1
	s_add_i32 s20, s18, 1
	s_waitcnt lgkmcnt(0)
	v_add_u32_e32 v9, s20, v4
	v_cmp_gt_i32_e32 vcc, s27, v9
	s_and_saveexec_b64 s[10:11], vcc
	s_cbranch_execz .LBB4_165
; %bb.158:                              ;   in Loop: Header=BB4_148 Depth=1
	v_add_u32_e32 v10, s20, v1
	v_cmp_gt_i32_e64 s[8:9], s27, v10
	s_mov_b64 s[12:13], 0
	v_mov_b32_e32 v11, v6
	s_branch .LBB4_160
.LBB4_159:                              ;   in Loop: Header=BB4_160 Depth=2
	s_or_b64 exec, exec, s[14:15]
	v_add_u32_e32 v9, 32, v9
	v_cmp_le_i32_e32 vcc, s27, v9
	s_or_b64 s[12:13], vcc, s[12:13]
	v_add_u32_e32 v11, 0x80, v11
	s_andn2_b64 exec, exec, s[12:13]
	s_cbranch_execz .LBB4_165
.LBB4_160:                              ;   Parent Loop BB4_148 Depth=1
                                        ; =>  This Loop Header: Depth=2
                                        ;       Child Loop BB4_164 Depth 3
	v_lshl_add_u32 v13, v9, 2, s19
	ds_read_b32 v12, v13
	s_waitcnt lgkmcnt(0)
	v_div_scale_f32 v14, s[14:15], v8, v8, v12
	v_rcp_f32_e32 v15, v14
	v_div_scale_f32 v17, vcc, v12, v8, v12
	v_fma_f32 v18, -v14, v15, 1.0
	v_fmac_f32_e32 v15, v18, v15
	v_mul_f32_e32 v18, v17, v15
	v_fma_f32 v19, -v14, v18, v17
	v_fmac_f32_e32 v18, v19, v15
	v_fma_f32 v14, -v14, v18, v17
	v_div_fmas_f32 v14, v14, v15, v18
	v_div_fixup_f32 v12, v14, v8, v12
	s_and_saveexec_b64 s[14:15], s[4:5]
; %bb.161:                              ;   in Loop: Header=BB4_160 Depth=2
	ds_write_b32 v13, v12
; %bb.162:                              ;   in Loop: Header=BB4_160 Depth=2
	s_or_b64 exec, exec, s[14:15]
	s_and_saveexec_b64 s[14:15], s[8:9]
	s_cbranch_execz .LBB4_159
; %bb.163:                              ;   in Loop: Header=BB4_160 Depth=2
	s_mov_b64 s[16:17], 0
	v_mov_b32_e32 v13, v7
	v_mov_b32_e32 v14, v11
	;; [unrolled: 1-line block ×3, first 2 shown]
.LBB4_164:                              ;   Parent Loop BB4_148 Depth=1
                                        ;     Parent Loop BB4_160 Depth=2
                                        ; =>    This Inner Loop Header: Depth=3
	ds_read_b32 v17, v13
	ds_read_b32 v18, v14
	v_add_u32_e32 v15, 2, v15
	v_cmp_le_i32_e32 vcc, s27, v15
	s_or_b64 s[16:17], vcc, s[16:17]
	v_add_u32_e32 v13, 0x108, v13
	s_waitcnt lgkmcnt(0)
	v_fma_f32 v17, -v12, v17, v18
	ds_write_b32 v14, v17
	v_add_u32_e32 v14, 0x108, v14
	s_andn2_b64 exec, exec, s[16:17]
	s_cbranch_execnz .LBB4_164
	s_branch .LBB4_159
.LBB4_165:                              ;   in Loop: Header=BB4_148 Depth=1
	s_or_b64 exec, exec, s[10:11]
	s_cbranch_execnz .LBB4_152
.LBB4_166:                              ;   in Loop: Header=BB4_148 Depth=1
	s_add_i32 s20, s18, 1
	s_mov_b64 s[48:49], -1
	v_add_u32_e32 v6, 0x88, v6
	s_cmp_eq_u32 s20, s27
	v_add_u32_e32 v7, 0x88, v7
	s_cbranch_scc1 .LBB4_168
.LBB4_167:                              ;   in Loop: Header=BB4_148 Depth=1
	s_mov_b32 s18, s20
	s_branch .LBB4_148
.LBB4_168:
	s_waitcnt lgkmcnt(0)
	s_and_saveexec_b64 s[8:9], s[0:1]
	s_cbranch_execz .LBB4_185
; %bb.169:
	v_bfe_u32 v2, v0, 10, 10
	v_xad_u32 v1, v2, -1, s27
	v_lshrrev_b32_e32 v3, 1, v1
	v_add_u32_e32 v6, 1, v3
	s_cmp_lg_u32 s52, 0
	s_mul_i32 s22, s50, s27
	v_and_b32_e32 v10, -2, v6
	s_cselect_b64 s[10:11], -1, 0
	s_cmp_eq_u32 s52, 0
	v_cmp_lt_u32_e64 s[4:5], 1, v1
	v_lshl_add_u32 v11, v10, 1, v2
	s_movk_i32 s14, 0x84
	v_add_u32_e32 v1, s22, v4
	v_cmp_gt_u32_e64 s[0:1], s27, v2
	s_cselect_b64 s[2:3], -1, 0
	s_mov_b32 s23, s22
	s_mov_b32 s24, s27
	v_add_u32_e32 v3, 2, v2
	v_cmp_ne_u32_e64 s[6:7], v6, v10
	v_mul_u32_u24_e32 v12, 0x84, v2
	v_mad_u32_u24 v13, v2, s14, v5
	v_mul_lo_u32 v14, s27, v1
	s_lshl_b32 s25, s27, 5
	s_mov_b64 s[12:13], 0
	v_mul_lo_u32 v15, v11, s14
	s_branch .LBB4_171
.LBB4_170:                              ;   in Loop: Header=BB4_171 Depth=1
	s_or_b64 exec, exec, s[14:15]
	v_add_u32_e32 v4, 32, v4
	v_cmp_le_i32_e32 vcc, s27, v4
	v_add_u32_e32 v13, 0x80, v13
	v_add_u32_e32 v14, s25, v14
	s_or_b64 s[12:13], vcc, s[12:13]
	v_add_u32_e32 v5, 0x80, v5
	s_andn2_b64 exec, exec, s[12:13]
	s_cbranch_execz .LBB4_185
.LBB4_171:                              ; =>This Loop Header: Depth=1
                                        ;     Child Loop BB4_174 Depth 2
                                        ;     Child Loop BB4_181 Depth 2
	s_and_saveexec_b64 s[14:15], s[0:1]
	s_cbranch_execz .LBB4_170
; %bb.172:                              ;   in Loop: Header=BB4_171 Depth=1
	s_mov_b64 s[18:19], -1
	v_mov_b32_e32 v1, v2
	v_mov_b32_e32 v6, v12
	s_and_saveexec_b64 s[16:17], s[4:5]
	s_cbranch_execz .LBB4_178
; %bb.173:                              ;   in Loop: Header=BB4_171 Depth=1
	v_add_u32_e32 v1, s22, v4
	v_mul_lo_u32 v6, v1, s27
	v_mov_b32_e32 v1, v6
	s_mov_b64 s[18:19], 0
	v_mov_b32_e32 v7, v10
	v_mov_b32_e32 v16, v13
	v_mov_b64_e32 v[8:9], v[2:3]
.LBB4_174:                              ;   Parent Loop BB4_171 Depth=1
                                        ; =>  This Inner Loop Header: Depth=2
	ds_read2_b32 v[18:19], v16 offset1:66
	v_add_u32_e32 v17, s22, v8
	v_add_u32_e32 v20, s23, v9
	;; [unrolled: 1-line block ×3, first 2 shown]
	v_mad_u64_u32 v[22:23], s[20:21], v17, s27, v[4:5]
	v_add_u32_e32 v24, v9, v1
	v_add_u32_e32 v7, -2, v7
	v_mad_u64_u32 v[20:21], s[20:21], v20, s24, v[4:5]
	v_cndmask_b32_e64 v22, v22, v25, s[2:3]
	v_cmp_eq_u32_e32 vcc, 0, v7
	v_cndmask_b32_e64 v20, v20, v24, s[2:3]
	v_ashrrev_i32_e32 v23, 31, v22
	v_add_u32_e32 v9, 4, v9
	v_add_u32_e32 v8, 4, v8
	;; [unrolled: 1-line block ×3, first 2 shown]
	s_or_b64 s[18:19], vcc, s[18:19]
	v_ashrrev_i32_e32 v21, 31, v20
	v_lshl_add_u64 v[22:23], v[22:23], 2, s[40:41]
	v_lshl_add_u64 v[20:21], v[20:21], 2, s[40:41]
	s_waitcnt lgkmcnt(0)
	global_store_dword v[22:23], v18, off
	global_store_dword v[20:21], v19, off
	s_andn2_b64 exec, exec, s[18:19]
	s_cbranch_execnz .LBB4_174
; %bb.175:                              ;   in Loop: Header=BB4_171 Depth=1
	s_or_b64 exec, exec, s[18:19]
	s_mov_b64 s[18:19], 0
	s_and_saveexec_b64 s[20:21], s[6:7]
; %bb.176:                              ;   in Loop: Header=BB4_171 Depth=1
	s_mov_b64 s[18:19], exec
; %bb.177:                              ;   in Loop: Header=BB4_171 Depth=1
	s_or_b64 exec, exec, s[20:21]
	s_orn2_b64 s[18:19], s[18:19], exec
	v_mov_b32_e32 v1, v11
	v_mov_b32_e32 v6, v15
.LBB4_178:                              ;   in Loop: Header=BB4_171 Depth=1
	s_or_b64 exec, exec, s[16:17]
	s_and_b64 exec, exec, s[18:19]
	s_cbranch_execz .LBB4_170
; %bb.179:                              ;   in Loop: Header=BB4_171 Depth=1
	v_add_u32_e32 v8, v5, v6
	s_mov_b64 s[16:17], 0
	s_branch .LBB4_181
.LBB4_180:                              ;   in Loop: Header=BB4_181 Depth=2
	v_add_u32_e32 v1, 2, v1
	v_ashrrev_i32_e32 v7, 31, v6
	v_cmp_le_i32_e32 vcc, s27, v1
	v_lshl_add_u64 v[6:7], v[6:7], 2, s[40:41]
	s_or_b64 s[16:17], vcc, s[16:17]
	v_add_u32_e32 v8, 0x108, v8
	s_waitcnt lgkmcnt(0)
	global_store_dword v[6:7], v9, off
	s_andn2_b64 exec, exec, s[16:17]
	s_cbranch_execz .LBB4_170
.LBB4_181:                              ;   Parent Loop BB4_171 Depth=1
                                        ; =>  This Inner Loop Header: Depth=2
	ds_read_b32 v9, v8
	s_mov_b64 s[18:19], -1
	s_and_b64 vcc, exec, s[10:11]
                                        ; implicit-def: $vgpr6
	s_cbranch_vccz .LBB4_183
; %bb.182:                              ;   in Loop: Header=BB4_181 Depth=2
	v_add_u32_e32 v6, s22, v1
	v_mad_u64_u32 v[6:7], s[18:19], v6, s27, v[4:5]
	s_mov_b64 s[18:19], 0
.LBB4_183:                              ;   in Loop: Header=BB4_181 Depth=2
	s_andn2_b64 vcc, exec, s[18:19]
	s_cbranch_vccnz .LBB4_180
; %bb.184:                              ;   in Loop: Header=BB4_181 Depth=2
	v_add_u32_e32 v6, v14, v1
	s_branch .LBB4_180
.LBB4_185:
	s_or_b64 exec, exec, s[8:9]
.LBB4_186:
	s_add_i32 s33, s50, 1
	s_cmp_ge_i32 s33, s31
	s_cbranch_scc1 .LBB4_252
; %bb.187:
	v_bfe_u32 v2, v0, 10, 10
	s_cmp_lg_u32 s52, 0
	v_xad_u32 v1, v2, -1, s27
	v_and_b32_e32 v5, 0x3ff, v0
	s_cselect_b64 s[20:21], -1, 0
	s_cmp_eq_u32 s52, 0
	v_lshrrev_b32_e32 v3, 1, v1
	v_cmp_lt_u32_e64 s[8:9], 1, v1
	v_mov_b32_e32 v1, 0x1080
	s_mul_i32 s18, s27, s33
	s_cselect_b64 s[6:7], -1, 0
	s_cmp_gt_i32 s27, 0
	v_add_u32_e32 v4, 1, v3
	v_lshl_add_u32 v14, v5, 2, v1
	v_add_u32_e32 v1, s18, v5
	s_cselect_b64 s[12:13], -1, 0
	v_and_b32_e32 v11, -2, v4
	s_cmp_lg_u32 s27, 1
	s_movk_i32 s52, 0x84
	v_mul_lo_u32 v16, s27, v1
	v_lshlrev_b32_e32 v1, 2, v2
	v_cmp_ne_u32_e64 s[10:11], v4, v11
	s_cselect_b64 s[14:15], -1, 0
	s_and_b32 s51, s27, 0x7ffffffe
	v_mad_u32_u24 v4, v5, s52, v1
	v_add_u32_e32 v18, 4, v1
	v_add_u32_e32 v19, 0x8c, v1
	v_mov_b32_e32 v1, 0x1084
	s_bitcmp1_b32 s27, 0
	v_mad_u32_u24 v21, v5, s52, v1
	v_cndmask_b32_e64 v1, 0, 1, s[12:13]
	s_cselect_b64 s[16:17], -1, 0
	v_cmp_ne_u32_e64 s[12:13], 1, v1
	v_cndmask_b32_e64 v1, 0, 1, s[14:15]
	v_lshl_add_u32 v12, v11, 1, v2
	v_cmp_ne_u32_e64 s[14:15], 1, v1
	v_cndmask_b32_e64 v1, 0, 1, s[16:17]
	v_cmp_gt_i32_e64 s[0:1], s27, v5
	v_cmp_le_i32_e64 s[2:3], s27, v5
	v_cmp_gt_i32_e64 s[4:5], s27, v2
	v_add_u32_e32 v10, 1, v2
	s_mov_b32 s50, s27
	v_add_u32_e32 v3, 2, v2
	v_mul_u32_u24_e32 v13, 0x84, v2
	v_mad_u32_u24 v15, v2, s52, v14
	s_mul_i32 s53, s27, s27
	s_lshl_b32 s54, s27, 5
	v_add_u32_e32 v17, 0x1084, v4
	v_add_u32_e32 v20, 0x1088, v4
	v_mul_lo_u32 v22, v12, s52
	v_cmp_ne_u32_e64 s[16:17], 1, v1
	v_mul_lo_u32 v23, v12, s52
	s_branch .LBB4_190
.LBB4_188:                              ;   in Loop: Header=BB4_190 Depth=1
	s_or_b64 exec, exec, s[22:23]
.LBB4_189:                              ;   in Loop: Header=BB4_190 Depth=1
	s_or_b64 exec, exec, s[18:19]
	s_add_i32 s33, s33, 1
	s_cmp_ge_i32 s33, s31
	v_add_u32_e32 v16, s53, v16
	s_cbranch_scc1 .LBB4_252
.LBB4_190:                              ; =>This Loop Header: Depth=1
                                        ;     Child Loop BB4_193 Depth 2
                                        ;       Child Loop BB4_196 Depth 3
                                        ;       Child Loop BB4_203 Depth 3
                                        ;     Child Loop BB4_211 Depth 2
                                        ;       Child Loop BB4_214 Depth 3
                                        ;         Child Loop BB4_216 Depth 4
                                        ;       Child Loop BB4_219 Depth 3
                                        ;         Child Loop BB4_221 Depth 4
                                        ;     Child Loop BB4_228 Depth 2
                                        ;       Child Loop BB4_230 Depth 3
                                        ;     Child Loop BB4_238 Depth 2
                                        ;       Child Loop BB4_241 Depth 3
                                        ;       Child Loop BB4_248 Depth 3
	s_waitcnt lgkmcnt(0)
	s_and_saveexec_b64 s[18:19], s[0:1]
	s_cbranch_execz .LBB4_207
; %bb.191:                              ;   in Loop: Header=BB4_190 Depth=1
	s_mul_i32 s44, s33, s27
	s_mov_b32 s45, s44
	s_mov_b64 s[22:23], 0
	v_mov_b32_e32 v24, v14
	v_mov_b32_e32 v25, v16
	;; [unrolled: 1-line block ×4, first 2 shown]
	s_branch .LBB4_193
.LBB4_192:                              ;   in Loop: Header=BB4_193 Depth=2
	s_or_b64 exec, exec, s[24:25]
	v_add_u32_e32 v4, 32, v4
	v_cmp_le_i32_e32 vcc, s27, v4
	v_add_u32_e32 v26, 0x80, v26
	v_add_u32_e32 v25, s54, v25
	s_or_b64 s[22:23], vcc, s[22:23]
	v_add_u32_e32 v24, 0x80, v24
	s_andn2_b64 exec, exec, s[22:23]
	s_cbranch_execz .LBB4_207
.LBB4_193:                              ;   Parent Loop BB4_190 Depth=1
                                        ; =>  This Loop Header: Depth=2
                                        ;       Child Loop BB4_196 Depth 3
                                        ;       Child Loop BB4_203 Depth 3
	s_and_saveexec_b64 s[24:25], s[4:5]
	s_cbranch_execz .LBB4_192
; %bb.194:                              ;   in Loop: Header=BB4_193 Depth=2
	s_mov_b64 s[38:39], -1
	v_mov_b32_e32 v1, v2
	v_mov_b32_e32 v6, v13
	s_and_saveexec_b64 s[36:37], s[8:9]
	s_cbranch_execz .LBB4_200
; %bb.195:                              ;   in Loop: Header=BB4_193 Depth=2
	v_add_u32_e32 v1, s44, v4
	v_mul_lo_u32 v6, v1, s27
	v_mov_b32_e32 v1, v6
	s_mov_b64 s[38:39], 0
	v_mov_b32_e32 v7, v11
	v_mov_b32_e32 v27, v26
	v_mov_b64_e32 v[8:9], v[2:3]
.LBB4_196:                              ;   Parent Loop BB4_190 Depth=1
                                        ;     Parent Loop BB4_193 Depth=2
                                        ; =>    This Inner Loop Header: Depth=3
	v_add_u32_e32 v30, s44, v8
	v_add_u32_e32 v28, s45, v9
	;; [unrolled: 1-line block ×4, first 2 shown]
	v_mad_u64_u32 v[28:29], s[42:43], v28, s50, v[4:5]
	v_mad_u64_u32 v[30:31], s[42:43], v30, s27, v[4:5]
	v_cndmask_b32_e64 v30, v30, v33, s[6:7]
	v_cndmask_b32_e64 v28, v28, v32, s[6:7]
	v_ashrrev_i32_e32 v29, 31, v28
	v_ashrrev_i32_e32 v31, 31, v30
	v_lshl_add_u64 v[30:31], v[30:31], 2, s[40:41]
	v_lshl_add_u64 v[28:29], v[28:29], 2, s[40:41]
	global_load_dword v30, v[30:31], off
	s_nop 0
	global_load_dword v28, v[28:29], off
	v_add_u32_e32 v7, -2, v7
	v_cmp_eq_u32_e32 vcc, 0, v7
	v_add_u32_e32 v9, 4, v9
	v_add_u32_e32 v8, 4, v8
	s_or_b64 s[38:39], vcc, s[38:39]
	s_waitcnt vmcnt(0)
	ds_write2_b32 v27, v30, v28 offset1:66
	v_add_u32_e32 v27, 0x210, v27
	s_andn2_b64 exec, exec, s[38:39]
	s_cbranch_execnz .LBB4_196
; %bb.197:                              ;   in Loop: Header=BB4_193 Depth=2
	s_or_b64 exec, exec, s[38:39]
	s_mov_b64 s[38:39], 0
	s_and_saveexec_b64 s[42:43], s[10:11]
; %bb.198:                              ;   in Loop: Header=BB4_193 Depth=2
	s_mov_b64 s[38:39], exec
; %bb.199:                              ;   in Loop: Header=BB4_193 Depth=2
	s_or_b64 exec, exec, s[42:43]
	s_orn2_b64 s[38:39], s[38:39], exec
	v_mov_b32_e32 v1, v12
	v_mov_b32_e32 v6, v22
.LBB4_200:                              ;   in Loop: Header=BB4_193 Depth=2
	s_or_b64 exec, exec, s[36:37]
	s_and_b64 exec, exec, s[38:39]
	s_cbranch_execz .LBB4_192
; %bb.201:                              ;   in Loop: Header=BB4_193 Depth=2
	v_add_u32_e32 v8, v24, v6
	s_mov_b64 s[36:37], 0
	s_branch .LBB4_203
.LBB4_202:                              ;   in Loop: Header=BB4_203 Depth=3
	v_ashrrev_i32_e32 v7, 31, v6
	v_lshl_add_u64 v[6:7], v[6:7], 2, s[40:41]
	global_load_dword v6, v[6:7], off
	v_add_u32_e32 v1, 2, v1
	v_cmp_le_i32_e32 vcc, s27, v1
	s_or_b64 s[36:37], vcc, s[36:37]
	s_waitcnt vmcnt(0)
	ds_write_b32 v8, v6
	v_add_u32_e32 v8, 0x108, v8
	s_andn2_b64 exec, exec, s[36:37]
	s_cbranch_execz .LBB4_192
.LBB4_203:                              ;   Parent Loop BB4_190 Depth=1
                                        ;     Parent Loop BB4_193 Depth=2
                                        ; =>    This Inner Loop Header: Depth=3
	s_mov_b64 s[38:39], -1
	s_and_b64 vcc, exec, s[20:21]
                                        ; implicit-def: $vgpr6
	s_cbranch_vccz .LBB4_205
; %bb.204:                              ;   in Loop: Header=BB4_203 Depth=3
	v_add_u32_e32 v6, s44, v1
	v_mad_u64_u32 v[6:7], s[38:39], v6, s27, v[4:5]
	s_mov_b64 s[38:39], 0
.LBB4_205:                              ;   in Loop: Header=BB4_203 Depth=3
	s_andn2_b64 vcc, exec, s[38:39]
	s_cbranch_vccnz .LBB4_202
; %bb.206:                              ;   in Loop: Header=BB4_203 Depth=3
	v_add_u32_e32 v6, v25, v1
	s_branch .LBB4_202
.LBB4_207:                              ;   in Loop: Header=BB4_190 Depth=1
	s_or_b64 exec, exec, s[18:19]
	s_and_b64 vcc, exec, s[12:13]
	s_waitcnt lgkmcnt(0)
	s_cbranch_vccnz .LBB4_231
; %bb.208:                              ;   in Loop: Header=BB4_190 Depth=1
	s_and_b64 vcc, exec, s[14:15]
	s_mov_b32 s36, 0
	s_cbranch_vccnz .LBB4_222
; %bb.209:                              ;   in Loop: Header=BB4_190 Depth=1
	s_mov_b32 s42, 0
	v_mov_b32_e32 v1, v20
	v_mov_b32_e32 v4, v19
	;; [unrolled: 1-line block ×4, first 2 shown]
	s_branch .LBB4_211
.LBB4_210:                              ;   in Loop: Header=BB4_211 Depth=2
	s_or_b64 exec, exec, s[22:23]
	s_add_i32 s42, s42, 2
	v_add_u32_e32 v7, 8, v7
	v_add_u32_e32 v6, 0x110, v6
	;; [unrolled: 1-line block ×4, first 2 shown]
	s_cmp_eq_u32 s42, s51
	s_mov_b32 s36, s51
	s_cbranch_scc1 .LBB4_222
.LBB4_211:                              ;   Parent Loop BB4_190 Depth=1
                                        ; =>  This Loop Header: Depth=2
                                        ;       Child Loop BB4_214 Depth 3
                                        ;         Child Loop BB4_216 Depth 4
                                        ;       Child Loop BB4_219 Depth 3
                                        ;         Child Loop BB4_221 Depth 4
	s_and_saveexec_b64 s[22:23], s[0:1]
	s_cbranch_execz .LBB4_210
; %bb.212:                              ;   in Loop: Header=BB4_211 Depth=2
	v_add_u32_e32 v8, s42, v10
	s_lshl_b32 s43, s42, 2
	v_cmp_gt_i32_e32 vcc, s27, v8
	s_mov_b64 s[24:25], 0
	s_addk_i32 s43, 0x1080
	v_mov_b32_e32 v9, v7
	v_mov_b32_e32 v24, v5
	s_branch .LBB4_214
.LBB4_213:                              ;   in Loop: Header=BB4_214 Depth=3
	s_or_b64 exec, exec, s[36:37]
	v_add_u32_e32 v24, 32, v24
	v_cmp_le_i32_e64 s[18:19], s27, v24
	s_or_b64 s[24:25], s[18:19], s[24:25]
	v_add_u32_e32 v9, 0x1080, v9
	s_andn2_b64 exec, exec, s[24:25]
	s_cbranch_execz .LBB4_217
.LBB4_214:                              ;   Parent Loop BB4_190 Depth=1
                                        ;     Parent Loop BB4_211 Depth=2
                                        ; =>    This Loop Header: Depth=3
                                        ;         Child Loop BB4_216 Depth 4
	s_and_saveexec_b64 s[36:37], vcc
	s_cbranch_execz .LBB4_213
; %bb.215:                              ;   in Loop: Header=BB4_214 Depth=3
	v_mul_lo_u32 v25, v24, s52
	v_add_u32_e32 v25, s43, v25
	s_mov_b64 s[38:39], 0
	v_mov_b32_e32 v26, v6
	v_mov_b32_e32 v27, v9
	;; [unrolled: 1-line block ×3, first 2 shown]
.LBB4_216:                              ;   Parent Loop BB4_190 Depth=1
                                        ;     Parent Loop BB4_211 Depth=2
                                        ;       Parent Loop BB4_214 Depth=3
                                        ; =>      This Inner Loop Header: Depth=4
	ds_read_b32 v29, v26
	ds_read_b32 v30, v25
	;; [unrolled: 1-line block ×3, first 2 shown]
	v_add_u32_e32 v28, 2, v28
	v_cmp_le_i32_e64 s[18:19], s27, v28
	s_or_b64 s[38:39], s[18:19], s[38:39]
	v_add_u32_e32 v26, 8, v26
	s_waitcnt lgkmcnt(0)
	v_fma_f32 v29, -v29, v30, v31
	ds_write_b32 v27, v29
	v_add_u32_e32 v27, 8, v27
	s_andn2_b64 exec, exec, s[38:39]
	s_cbranch_execnz .LBB4_216
	s_branch .LBB4_213
.LBB4_217:                              ;   in Loop: Header=BB4_211 Depth=2
	s_or_b64 exec, exec, s[24:25]
	v_add3_u32 v8, v10, s42, 1
	v_cmp_gt_i32_e32 vcc, s27, v8
	s_mov_b64 s[24:25], 0
	v_mov_b32_e32 v9, v1
	v_mov_b32_e32 v24, v5
	s_branch .LBB4_219
.LBB4_218:                              ;   in Loop: Header=BB4_219 Depth=3
	s_or_b64 exec, exec, s[36:37]
	v_add_u32_e32 v24, 32, v24
	v_cmp_le_i32_e64 s[18:19], s27, v24
	s_or_b64 s[24:25], s[18:19], s[24:25]
	v_add_u32_e32 v9, 0x1080, v9
	s_andn2_b64 exec, exec, s[24:25]
	s_cbranch_execz .LBB4_210
.LBB4_219:                              ;   Parent Loop BB4_190 Depth=1
                                        ;     Parent Loop BB4_211 Depth=2
                                        ; =>    This Loop Header: Depth=3
                                        ;         Child Loop BB4_221 Depth 4
	s_and_saveexec_b64 s[36:37], vcc
	s_cbranch_execz .LBB4_218
; %bb.220:                              ;   in Loop: Header=BB4_219 Depth=3
	v_mul_lo_u32 v25, v24, s52
	v_add_u32_e32 v25, s43, v25
	s_mov_b64 s[38:39], 0
	v_mov_b32_e32 v26, v9
	v_mov_b32_e32 v27, v4
	;; [unrolled: 1-line block ×3, first 2 shown]
.LBB4_221:                              ;   Parent Loop BB4_190 Depth=1
                                        ;     Parent Loop BB4_211 Depth=2
                                        ;       Parent Loop BB4_219 Depth=3
                                        ; =>      This Inner Loop Header: Depth=4
	ds_read_b32 v29, v27
	ds_read_b32 v30, v25 offset:4
	ds_read_b32 v31, v26
	v_add_u32_e32 v28, 2, v28
	v_cmp_le_i32_e64 s[18:19], s27, v28
	v_add_u32_e32 v27, 8, v27
	s_or_b64 s[38:39], s[18:19], s[38:39]
	s_waitcnt lgkmcnt(0)
	v_fma_f32 v29, -v29, v30, v31
	ds_write_b32 v26, v29
	v_add_u32_e32 v26, 8, v26
	s_andn2_b64 exec, exec, s[38:39]
	s_cbranch_execnz .LBB4_221
	s_branch .LBB4_218
.LBB4_222:                              ;   in Loop: Header=BB4_190 Depth=1
	s_and_b64 vcc, exec, s[16:17]
	s_mov_b64 s[18:19], -1
	s_cbranch_vccnz .LBB4_232
; %bb.223:                              ;   in Loop: Header=BB4_190 Depth=1
	s_and_saveexec_b64 s[18:19], s[2:3]
	s_xor_b64 s[18:19], exec, s[18:19]
	s_cbranch_execz .LBB4_225
; %bb.224:                              ;   in Loop: Header=BB4_190 Depth=1
	s_waitcnt lgkmcnt(0)
.LBB4_225:                              ;   in Loop: Header=BB4_190 Depth=1
	s_or_saveexec_b64 s[22:23], s[18:19]
	s_mov_b64 s[18:19], 0
	s_xor_b64 exec, exec, s[22:23]
	s_cbranch_execz .LBB4_234
; %bb.226:                              ;   in Loop: Header=BB4_190 Depth=1
	v_add_u32_e32 v1, s36, v10
	v_add_u32_e32 v4, s36, v2
	s_mul_i32 s18, s36, 0x88
	s_lshl_b32 s42, s36, 2
	v_cmp_gt_i32_e32 vcc, s27, v1
	v_lshl_add_u32 v4, v4, 2, v21
	v_add_u32_e32 v6, s18, v18
	s_mov_b64 s[24:25], 0
	s_addk_i32 s42, 0x1080
	v_mov_b32_e32 v7, v5
	s_branch .LBB4_228
.LBB4_227:                              ;   in Loop: Header=BB4_228 Depth=2
	s_or_b64 exec, exec, s[36:37]
	v_add_u32_e32 v7, 32, v7
	v_cmp_le_i32_e64 s[18:19], s27, v7
	s_or_b64 s[24:25], s[18:19], s[24:25]
	v_add_u32_e32 v4, 0x1080, v4
	s_andn2_b64 exec, exec, s[24:25]
	s_cbranch_execz .LBB4_233
.LBB4_228:                              ;   Parent Loop BB4_190 Depth=1
                                        ; =>  This Loop Header: Depth=2
                                        ;       Child Loop BB4_230 Depth 3
	s_and_saveexec_b64 s[36:37], vcc
	s_cbranch_execz .LBB4_227
; %bb.229:                              ;   in Loop: Header=BB4_228 Depth=2
	v_mul_lo_u32 v8, v7, s52
	v_add_u32_e32 v8, s42, v8
	s_mov_b64 s[38:39], 0
	v_mov_b32_e32 v9, v6
	v_mov_b32_e32 v24, v4
	;; [unrolled: 1-line block ×3, first 2 shown]
.LBB4_230:                              ;   Parent Loop BB4_190 Depth=1
                                        ;     Parent Loop BB4_228 Depth=2
                                        ; =>    This Inner Loop Header: Depth=3
	ds_read_b32 v26, v9
	ds_read_b32 v27, v8
	;; [unrolled: 1-line block ×3, first 2 shown]
	v_add_u32_e32 v25, 2, v25
	v_cmp_le_i32_e64 s[18:19], s27, v25
	s_or_b64 s[38:39], s[18:19], s[38:39]
	v_add_u32_e32 v9, 8, v9
	s_waitcnt lgkmcnt(0)
	v_fma_f32 v26, -v26, v27, v28
	ds_write_b32 v24, v26
	v_add_u32_e32 v24, 8, v24
	s_andn2_b64 exec, exec, s[38:39]
	s_cbranch_execnz .LBB4_230
	s_branch .LBB4_227
.LBB4_231:                              ;   in Loop: Header=BB4_190 Depth=1
	s_mov_b64 s[18:19], -1
.LBB4_232:                              ;   in Loop: Header=BB4_190 Depth=1
	s_and_saveexec_b64 s[22:23], s[18:19]
	s_xor_b64 s[18:19], exec, s[22:23]
	s_cbranch_execz .LBB4_189
	s_branch .LBB4_235
.LBB4_233:                              ;   in Loop: Header=BB4_190 Depth=1
	s_or_b64 exec, exec, s[24:25]
	s_mov_b64 s[18:19], exec
.LBB4_234:                              ;   in Loop: Header=BB4_190 Depth=1
	s_or_b64 exec, exec, s[22:23]
	s_and_saveexec_b64 s[22:23], s[18:19]
	s_xor_b64 s[18:19], exec, s[22:23]
	s_cbranch_execz .LBB4_189
.LBB4_235:                              ;   in Loop: Header=BB4_190 Depth=1
	s_waitcnt lgkmcnt(0)
	s_and_saveexec_b64 s[22:23], s[0:1]
	s_cbranch_execz .LBB4_188
; %bb.236:                              ;   in Loop: Header=BB4_190 Depth=1
	s_mul_i32 s55, s33, s27
	s_mov_b32 s56, s55
	s_mov_b64 s[24:25], 0
	v_mov_b32_e32 v24, v14
	v_mov_b32_e32 v25, v16
	;; [unrolled: 1-line block ×4, first 2 shown]
	s_branch .LBB4_238
.LBB4_237:                              ;   in Loop: Header=BB4_238 Depth=2
	s_or_b64 exec, exec, s[36:37]
	v_add_u32_e32 v4, 32, v4
	v_cmp_le_i32_e32 vcc, s27, v4
	v_add_u32_e32 v26, 0x80, v26
	v_add_u32_e32 v25, s54, v25
	s_or_b64 s[24:25], vcc, s[24:25]
	v_add_u32_e32 v24, 0x80, v24
	s_andn2_b64 exec, exec, s[24:25]
	s_cbranch_execz .LBB4_188
.LBB4_238:                              ;   Parent Loop BB4_190 Depth=1
                                        ; =>  This Loop Header: Depth=2
                                        ;       Child Loop BB4_241 Depth 3
                                        ;       Child Loop BB4_248 Depth 3
	s_and_saveexec_b64 s[36:37], s[4:5]
	s_cbranch_execz .LBB4_237
; %bb.239:                              ;   in Loop: Header=BB4_238 Depth=2
	s_mov_b64 s[42:43], -1
	v_mov_b32_e32 v1, v2
	v_mov_b32_e32 v6, v13
	s_and_saveexec_b64 s[38:39], s[8:9]
	s_cbranch_execz .LBB4_245
; %bb.240:                              ;   in Loop: Header=BB4_238 Depth=2
	v_add_u32_e32 v1, s55, v4
	v_mul_lo_u32 v6, v1, s27
	v_mov_b32_e32 v1, v6
	s_mov_b64 s[42:43], 0
	v_mov_b32_e32 v7, v11
	v_mov_b32_e32 v27, v26
	v_mov_b64_e32 v[8:9], v[2:3]
.LBB4_241:                              ;   Parent Loop BB4_190 Depth=1
                                        ;     Parent Loop BB4_238 Depth=2
                                        ; =>    This Inner Loop Header: Depth=3
	ds_read2_b32 v[28:29], v27 offset1:66
	v_add_u32_e32 v32, s55, v8
	v_add_u32_e32 v30, s56, v9
	;; [unrolled: 1-line block ×3, first 2 shown]
	v_mad_u64_u32 v[32:33], s[44:45], v32, s27, v[4:5]
	v_add_u32_e32 v34, v9, v1
	v_add_u32_e32 v7, -2, v7
	v_mad_u64_u32 v[30:31], s[44:45], v30, s50, v[4:5]
	v_cndmask_b32_e64 v32, v32, v35, s[6:7]
	v_cmp_eq_u32_e32 vcc, 0, v7
	v_cndmask_b32_e64 v30, v30, v34, s[6:7]
	v_ashrrev_i32_e32 v33, 31, v32
	v_add_u32_e32 v9, 4, v9
	v_add_u32_e32 v8, 4, v8
	;; [unrolled: 1-line block ×3, first 2 shown]
	s_or_b64 s[42:43], vcc, s[42:43]
	v_ashrrev_i32_e32 v31, 31, v30
	v_lshl_add_u64 v[32:33], v[32:33], 2, s[40:41]
	v_lshl_add_u64 v[30:31], v[30:31], 2, s[40:41]
	s_waitcnt lgkmcnt(0)
	global_store_dword v[32:33], v28, off
	global_store_dword v[30:31], v29, off
	s_andn2_b64 exec, exec, s[42:43]
	s_cbranch_execnz .LBB4_241
; %bb.242:                              ;   in Loop: Header=BB4_238 Depth=2
	s_or_b64 exec, exec, s[42:43]
	s_mov_b64 s[42:43], 0
	s_and_saveexec_b64 s[44:45], s[10:11]
; %bb.243:                              ;   in Loop: Header=BB4_238 Depth=2
	s_mov_b64 s[42:43], exec
; %bb.244:                              ;   in Loop: Header=BB4_238 Depth=2
	s_or_b64 exec, exec, s[44:45]
	s_orn2_b64 s[42:43], s[42:43], exec
	v_mov_b32_e32 v1, v12
	v_mov_b32_e32 v6, v23
.LBB4_245:                              ;   in Loop: Header=BB4_238 Depth=2
	s_or_b64 exec, exec, s[38:39]
	s_and_b64 exec, exec, s[42:43]
	s_cbranch_execz .LBB4_237
; %bb.246:                              ;   in Loop: Header=BB4_238 Depth=2
	v_add_u32_e32 v8, v24, v6
	s_mov_b64 s[38:39], 0
	s_branch .LBB4_248
.LBB4_247:                              ;   in Loop: Header=BB4_248 Depth=3
	v_add_u32_e32 v1, 2, v1
	v_ashrrev_i32_e32 v7, 31, v6
	v_cmp_le_i32_e32 vcc, s27, v1
	v_lshl_add_u64 v[6:7], v[6:7], 2, s[40:41]
	s_or_b64 s[38:39], vcc, s[38:39]
	v_add_u32_e32 v8, 0x108, v8
	s_waitcnt lgkmcnt(0)
	global_store_dword v[6:7], v9, off
	s_andn2_b64 exec, exec, s[38:39]
	s_cbranch_execz .LBB4_237
.LBB4_248:                              ;   Parent Loop BB4_190 Depth=1
                                        ;     Parent Loop BB4_238 Depth=2
                                        ; =>    This Inner Loop Header: Depth=3
	ds_read_b32 v9, v8
	s_mov_b64 s[42:43], -1
	s_and_b64 vcc, exec, s[20:21]
                                        ; implicit-def: $vgpr6
	s_cbranch_vccz .LBB4_250
; %bb.249:                              ;   in Loop: Header=BB4_248 Depth=3
	v_add_u32_e32 v6, s55, v1
	v_mad_u64_u32 v[6:7], s[42:43], v6, s27, v[4:5]
	s_mov_b64 s[42:43], 0
.LBB4_250:                              ;   in Loop: Header=BB4_248 Depth=3
	s_andn2_b64 vcc, exec, s[42:43]
	s_cbranch_vccnz .LBB4_247
; %bb.251:                              ;   in Loop: Header=BB4_248 Depth=3
	v_add_u32_e32 v6, v25, v1
	s_branch .LBB4_247
.LBB4_252:
	v_and_b32_e32 v0, 0xfffff, v0
	v_cmp_eq_u32_e32 vcc, 0, v0
	s_and_saveexec_b64 s[0:1], vcc
	s_cbranch_execz .LBB4_256
; %bb.253:
	s_add_u32 s0, s28, s46
	s_addc_u32 s1, s29, s47
	v_mov_b32_e32 v0, 0
	v_mov_b32_e32 v1, 1
	s_andn2_b64 vcc, exec, s[48:49]
	buffer_wbl2 sc1
	s_waitcnt vmcnt(0) lgkmcnt(0)
	global_store_dword v0, v1, s[0:1] sc1
	s_cbranch_vccnz .LBB4_256
; %bb.254:
	v_mbcnt_lo_u32_b32 v0, exec_lo, 0
	v_mbcnt_hi_u32_b32 v0, exec_hi, v0
	v_cmp_eq_u32_e32 vcc, 0, v0
	s_and_b64 exec, exec, vcc
	s_cbranch_execz .LBB4_256
; %bb.255:
	s_add_i32 s0, s30, s26
	v_mov_b32_e32 v0, 0
	v_mov_b32_e32 v1, s0
	global_atomic_smin v0, v1, s[34:35]
.LBB4_256:
	s_endpgm
	.section	.rodata,"a",@progbits
	.p2align	6, 0x0
	.amdhsa_kernel _ZN9rocsparseL12bsrilu0_9_32ILj64ELj64ELj32EfEEv20rocsparse_direction_iPKiS3_PT2_S3_iPiS3_S6_21rocsparse_index_base_imNS_24const_host_device_scalarIfEENS8_IdEENS8_IS4_EEb
		.amdhsa_group_segment_fixed_size 8448
		.amdhsa_private_segment_fixed_size 0
		.amdhsa_kernarg_size 116
		.amdhsa_user_sgpr_count 2
		.amdhsa_user_sgpr_dispatch_ptr 0
		.amdhsa_user_sgpr_queue_ptr 0
		.amdhsa_user_sgpr_kernarg_segment_ptr 1
		.amdhsa_user_sgpr_dispatch_id 0
		.amdhsa_user_sgpr_kernarg_preload_length 0
		.amdhsa_user_sgpr_kernarg_preload_offset 0
		.amdhsa_user_sgpr_private_segment_size 0
		.amdhsa_uses_dynamic_stack 0
		.amdhsa_enable_private_segment 0
		.amdhsa_system_sgpr_workgroup_id_x 1
		.amdhsa_system_sgpr_workgroup_id_y 0
		.amdhsa_system_sgpr_workgroup_id_z 0
		.amdhsa_system_sgpr_workgroup_info 0
		.amdhsa_system_vgpr_workitem_id 1
		.amdhsa_next_free_vgpr 81
		.amdhsa_next_free_sgpr 96
		.amdhsa_accum_offset 56
		.amdhsa_reserve_vcc 1
		.amdhsa_float_round_mode_32 0
		.amdhsa_float_round_mode_16_64 0
		.amdhsa_float_denorm_mode_32 3
		.amdhsa_float_denorm_mode_16_64 3
		.amdhsa_dx10_clamp 1
		.amdhsa_ieee_mode 1
		.amdhsa_fp16_overflow 0
		.amdhsa_tg_split 0
		.amdhsa_exception_fp_ieee_invalid_op 0
		.amdhsa_exception_fp_denorm_src 0
		.amdhsa_exception_fp_ieee_div_zero 0
		.amdhsa_exception_fp_ieee_overflow 0
		.amdhsa_exception_fp_ieee_underflow 0
		.amdhsa_exception_fp_ieee_inexact 0
		.amdhsa_exception_int_div_zero 0
	.end_amdhsa_kernel
	.section	.text._ZN9rocsparseL12bsrilu0_9_32ILj64ELj64ELj32EfEEv20rocsparse_direction_iPKiS3_PT2_S3_iPiS3_S6_21rocsparse_index_base_imNS_24const_host_device_scalarIfEENS8_IdEENS8_IS4_EEb,"axG",@progbits,_ZN9rocsparseL12bsrilu0_9_32ILj64ELj64ELj32EfEEv20rocsparse_direction_iPKiS3_PT2_S3_iPiS3_S6_21rocsparse_index_base_imNS_24const_host_device_scalarIfEENS8_IdEENS8_IS4_EEb,comdat
.Lfunc_end4:
	.size	_ZN9rocsparseL12bsrilu0_9_32ILj64ELj64ELj32EfEEv20rocsparse_direction_iPKiS3_PT2_S3_iPiS3_S6_21rocsparse_index_base_imNS_24const_host_device_scalarIfEENS8_IdEENS8_IS4_EEb, .Lfunc_end4-_ZN9rocsparseL12bsrilu0_9_32ILj64ELj64ELj32EfEEv20rocsparse_direction_iPKiS3_PT2_S3_iPiS3_S6_21rocsparse_index_base_imNS_24const_host_device_scalarIfEENS8_IdEENS8_IS4_EEb
                                        ; -- End function
	.set _ZN9rocsparseL12bsrilu0_9_32ILj64ELj64ELj32EfEEv20rocsparse_direction_iPKiS3_PT2_S3_iPiS3_S6_21rocsparse_index_base_imNS_24const_host_device_scalarIfEENS8_IdEENS8_IS4_EEb.num_vgpr, 56
	.set _ZN9rocsparseL12bsrilu0_9_32ILj64ELj64ELj32EfEEv20rocsparse_direction_iPKiS3_PT2_S3_iPiS3_S6_21rocsparse_index_base_imNS_24const_host_device_scalarIfEENS8_IdEENS8_IS4_EEb.num_agpr, 0
	.set _ZN9rocsparseL12bsrilu0_9_32ILj64ELj64ELj32EfEEv20rocsparse_direction_iPKiS3_PT2_S3_iPiS3_S6_21rocsparse_index_base_imNS_24const_host_device_scalarIfEENS8_IdEENS8_IS4_EEb.numbered_sgpr, 82
	.set _ZN9rocsparseL12bsrilu0_9_32ILj64ELj64ELj32EfEEv20rocsparse_direction_iPKiS3_PT2_S3_iPiS3_S6_21rocsparse_index_base_imNS_24const_host_device_scalarIfEENS8_IdEENS8_IS4_EEb.num_named_barrier, 0
	.set _ZN9rocsparseL12bsrilu0_9_32ILj64ELj64ELj32EfEEv20rocsparse_direction_iPKiS3_PT2_S3_iPiS3_S6_21rocsparse_index_base_imNS_24const_host_device_scalarIfEENS8_IdEENS8_IS4_EEb.private_seg_size, 0
	.set _ZN9rocsparseL12bsrilu0_9_32ILj64ELj64ELj32EfEEv20rocsparse_direction_iPKiS3_PT2_S3_iPiS3_S6_21rocsparse_index_base_imNS_24const_host_device_scalarIfEENS8_IdEENS8_IS4_EEb.uses_vcc, 1
	.set _ZN9rocsparseL12bsrilu0_9_32ILj64ELj64ELj32EfEEv20rocsparse_direction_iPKiS3_PT2_S3_iPiS3_S6_21rocsparse_index_base_imNS_24const_host_device_scalarIfEENS8_IdEENS8_IS4_EEb.uses_flat_scratch, 0
	.set _ZN9rocsparseL12bsrilu0_9_32ILj64ELj64ELj32EfEEv20rocsparse_direction_iPKiS3_PT2_S3_iPiS3_S6_21rocsparse_index_base_imNS_24const_host_device_scalarIfEENS8_IdEENS8_IS4_EEb.has_dyn_sized_stack, 0
	.set _ZN9rocsparseL12bsrilu0_9_32ILj64ELj64ELj32EfEEv20rocsparse_direction_iPKiS3_PT2_S3_iPiS3_S6_21rocsparse_index_base_imNS_24const_host_device_scalarIfEENS8_IdEENS8_IS4_EEb.has_recursion, 0
	.set _ZN9rocsparseL12bsrilu0_9_32ILj64ELj64ELj32EfEEv20rocsparse_direction_iPKiS3_PT2_S3_iPiS3_S6_21rocsparse_index_base_imNS_24const_host_device_scalarIfEENS8_IdEENS8_IS4_EEb.has_indirect_call, 0
	.section	.AMDGPU.csdata,"",@progbits
; Kernel info:
; codeLenInByte = 7900
; TotalNumSgprs: 88
; NumVgprs: 56
; NumAgprs: 0
; TotalNumVgprs: 56
; ScratchSize: 0
; MemoryBound: 0
; FloatMode: 240
; IeeeMode: 1
; LDSByteSize: 8448 bytes/workgroup (compile time only)
; SGPRBlocks: 12
; VGPRBlocks: 10
; NumSGPRsForWavesPerEU: 102
; NumVGPRsForWavesPerEU: 81
; AccumOffset: 56
; Occupancy: 5
; WaveLimiterHint : 1
; COMPUTE_PGM_RSRC2:SCRATCH_EN: 0
; COMPUTE_PGM_RSRC2:USER_SGPR: 2
; COMPUTE_PGM_RSRC2:TRAP_HANDLER: 0
; COMPUTE_PGM_RSRC2:TGID_X_EN: 1
; COMPUTE_PGM_RSRC2:TGID_Y_EN: 0
; COMPUTE_PGM_RSRC2:TGID_Z_EN: 0
; COMPUTE_PGM_RSRC2:TIDIG_COMP_CNT: 1
; COMPUTE_PGM_RSRC3_GFX90A:ACCUM_OFFSET: 13
; COMPUTE_PGM_RSRC3_GFX90A:TG_SPLIT: 0
	.section	.text._ZN9rocsparseL13bsrilu0_33_64ILj64ELj64ELj64EfEEv20rocsparse_direction_iPKiS3_PT2_S3_iPiS3_S6_21rocsparse_index_base_imNS_24const_host_device_scalarIfEENS8_IdEENS8_IS4_EEb,"axG",@progbits,_ZN9rocsparseL13bsrilu0_33_64ILj64ELj64ELj64EfEEv20rocsparse_direction_iPKiS3_PT2_S3_iPiS3_S6_21rocsparse_index_base_imNS_24const_host_device_scalarIfEENS8_IdEENS8_IS4_EEb,comdat
	.globl	_ZN9rocsparseL13bsrilu0_33_64ILj64ELj64ELj64EfEEv20rocsparse_direction_iPKiS3_PT2_S3_iPiS3_S6_21rocsparse_index_base_imNS_24const_host_device_scalarIfEENS8_IdEENS8_IS4_EEb ; -- Begin function _ZN9rocsparseL13bsrilu0_33_64ILj64ELj64ELj64EfEEv20rocsparse_direction_iPKiS3_PT2_S3_iPiS3_S6_21rocsparse_index_base_imNS_24const_host_device_scalarIfEENS8_IdEENS8_IS4_EEb
	.p2align	8
	.type	_ZN9rocsparseL13bsrilu0_33_64ILj64ELj64ELj64EfEEv20rocsparse_direction_iPKiS3_PT2_S3_iPiS3_S6_21rocsparse_index_base_imNS_24const_host_device_scalarIfEENS8_IdEENS8_IS4_EEb,@function
_ZN9rocsparseL13bsrilu0_33_64ILj64ELj64ELj64EfEEv20rocsparse_direction_iPKiS3_PT2_S3_iPiS3_S6_21rocsparse_index_base_imNS_24const_host_device_scalarIfEENS8_IdEENS8_IS4_EEb: ; @_ZN9rocsparseL13bsrilu0_33_64ILj64ELj64ELj64EfEEv20rocsparse_direction_iPKiS3_PT2_S3_iPiS3_S6_21rocsparse_index_base_imNS_24const_host_device_scalarIfEENS8_IdEENS8_IS4_EEb
; %bb.0:
	s_load_dword s3, s[0:1], 0x70
	s_load_dwordx2 s[22:23], s[0:1], 0x48
	s_load_dwordx8 s[36:43], s[0:1], 0x50
	s_waitcnt lgkmcnt(0)
	s_bitcmp1_b32 s3, 0
	s_cselect_b64 s[4:5], -1, 0
	s_cmp_eq_u32 s23, 0
	s_cselect_b64 s[6:7], -1, 0
	s_cmp_lg_u32 s23, 0
	s_cselect_b64 s[50:51], -1, 0
	s_or_b64 s[4:5], s[6:7], s[4:5]
	s_xor_b64 s[8:9], s[4:5], -1
	s_and_b64 s[10:11], s[6:7], exec
	s_cselect_b32 s11, 0, s41
	s_cselect_b32 s10, 0, s40
	s_and_b64 vcc, exec, s[4:5]
	s_cbranch_vccnz .LBB5_2
; %bb.1:
	s_load_dword s3, s[38:39], 0x0
	s_mov_b64 s[10:11], s[40:41]
	s_waitcnt lgkmcnt(0)
	v_mov_b32_e32 v17, s3
	s_branch .LBB5_3
.LBB5_2:
	v_mov_b32_e32 v1, s38
	v_cndmask_b32_e64 v17, v1, 0, s[6:7]
.LBB5_3:
	v_cndmask_b32_e64 v1, 0, 1, s[8:9]
	v_cmp_ne_u32_e64 s[4:5], 1, v1
	s_andn2_b64 vcc, exec, s[8:9]
	v_mov_b64_e32 v[2:3], s[10:11]
	s_cbranch_vccnz .LBB5_5
; %bb.4:
	v_mov_b64_e32 v[2:3], s[40:41]
	flat_load_dwordx2 v[2:3], v[2:3]
.LBB5_5:
	s_and_b64 vcc, exec, s[4:5]
	s_mov_b32 s3, 0
	s_cbranch_vccnz .LBB5_7
; %bb.6:
	s_load_dword s4, s[42:43], 0x0
	s_waitcnt lgkmcnt(0)
	v_mov_b32_e32 v16, s4
	s_branch .LBB5_8
.LBB5_7:
	v_mov_b32_e32 v1, s42
	v_cndmask_b32_e64 v16, v1, 0, s[6:7]
.LBB5_8:
	s_load_dwordx4 s[40:43], s[0:1], 0x30
	s_load_dwordx2 s[34:35], s[0:1], 0x40
	s_lshl_b64 s[2:3], s[2:3], 2
	s_waitcnt lgkmcnt(0)
	s_add_u32 s2, s42, s2
	s_addc_u32 s3, s43, s3
	s_load_dword s38, s[2:3], 0x0
	s_load_dwordx8 s[24:31], s[0:1], 0x8
	s_waitcnt lgkmcnt(0)
	s_ashr_i32 s39, s38, 31
	s_lshl_b64 s[42:43], s[38:39], 2
	s_add_u32 s2, s30, s42
	s_addc_u32 s3, s31, s43
	s_load_dword s46, s[2:3], 0x0
	s_waitcnt lgkmcnt(0)
	s_cmp_eq_u32 s46, -1
	s_cbranch_scc1 .LBB5_122
; %bb.9:
	s_add_u32 s2, s24, s42
	s_addc_u32 s3, s25, s43
	s_load_dwordx2 s[4:5], s[2:3], 0x0
	s_load_dwordx2 s[48:49], s[0:1], 0x0
	s_load_dword s23, s[0:1], 0x28
	s_mov_b64 s[44:45], 0
	s_waitcnt lgkmcnt(0)
	s_sub_i32 s52, s4, s22
	s_sub_i32 s33, s5, s22
	s_cmp_ge_i32 s52, s46
	s_cbranch_scc1 .LBB5_104
; %bb.10:
	v_and_b32_e32 v18, 0x3ff, v0
	v_bfe_u32 v4, v0, 10, 10
	v_lshl_or_b32 v1, v4, 6, v18
	v_add_u32_e32 v6, s52, v1
	v_ashrrev_i32_e32 v7, 31, v6
	v_sub_u32_e32 v1, s23, v4
	s_cmp_lg_u32 s48, 0
	v_lshl_add_u64 v[8:9], v[6:7], 2, s[26:27]
	v_and_b32_e32 v7, -2, v1
	s_mul_i32 s17, s23, s52
	s_cselect_b64 s[54:55], -1, 0
	s_cmp_eq_u32 s48, 0
	v_cmp_lt_u32_e64 s[12:13], 1, v1
	v_cmp_ne_u32_e64 s[14:15], v1, v7
	v_add_u32_e32 v1, s17, v18
	s_cselect_b64 s[6:7], -1, 0
	s_cmp_gt_i32 s23, 0
	v_add_u32_e32 v5, 1, v4
	v_add_u32_e32 v19, v4, v7
	s_movk_i32 s16, 0x104
	v_lshlrev_b32_e32 v21, 2, v18
	v_mul_lo_u32 v23, s23, v1
	v_mbcnt_lo_u32_b32 v1, -1, 0
	v_cmp_gt_i32_e64 s[0:1], s23, v18
	v_cmp_le_i32_e64 s[2:3], s23, v18
	v_cmp_gt_i32_e64 s[4:5], s23, v4
	s_cselect_b64 s[56:57], -1, 0
	v_cmp_eq_u32_e64 s[8:9], 0, v4
	v_cmp_gt_i32_e64 s[10:11], s33, v6
	s_add_i32 s39, s49, 1
	s_mov_b32 s47, s23
	v_mul_u32_u24_e32 v20, 0x104, v4
	v_mad_u32_u24 v22, v4, s16, v21
	s_lshl_b32 s49, s23, 6
	v_add_u32_e32 v24, v5, v23
	s_mul_i32 s68, s23, s23
	v_mad_u32_u24 v25, v4, s16, s16
	v_mov_b32_e32 v26, 0
	v_mul_lo_u32 v27, v19, s16
	v_cndmask_b32_e64 v28, 0, 1, s[54:55]
	v_mbcnt_hi_u32_b32 v29, -1, v1
	s_branch .LBB5_13
.LBB5_11:                               ;   in Loop: Header=BB5_13 Depth=1
	s_mov_b64 s[44:45], -1
.LBB5_12:                               ;   in Loop: Header=BB5_13 Depth=1
	s_add_i32 s52, s52, 1
	s_cmp_lt_i32 s52, s46
	s_cselect_b64 s[18:19], -1, 0
	s_and_b64 s[16:17], s[16:17], s[18:19]
	v_add_u32_e32 v24, s68, v24
	v_add_u32_e32 v23, s68, v23
	s_and_b64 vcc, exec, s[16:17]
	s_cbranch_vccz .LBB5_104
.LBB5_13:                               ; =>This Loop Header: Depth=1
                                        ;     Child Loop BB5_15 Depth 2
                                        ;     Child Loop BB5_19 Depth 2
                                        ;       Child Loop BB5_22 Depth 3
                                        ;       Child Loop BB5_29 Depth 3
                                        ;     Child Loop BB5_36 Depth 2
                                        ;       Child Loop BB5_39 Depth 3
                                        ;         Child Loop BB5_52 Depth 4
                                        ;     Child Loop BB5_61 Depth 2
                                        ;       Child Loop BB5_66 Depth 3
                                        ;       Child Loop BB5_75 Depth 3
                                        ;         Child Loop BB5_78 Depth 4
                                        ;         Child Loop BB5_85 Depth 4
                                        ;       Child Loop BB5_91 Depth 3
                                        ;         Child Loop BB5_94 Depth 4
                                        ;           Child Loop BB5_96 Depth 5
	s_ashr_i32 s53, s52, 31
	s_lshl_b64 s[16:17], s[52:53], 2
	s_add_u32 s16, s26, s16
	s_addc_u32 s17, s27, s17
	global_load_dword v1, v26, s[16:17]
	s_waitcnt vmcnt(0)
	v_readfirstlane_b32 s16, v1
	s_sub_i32 s16, s16, s22
	s_ashr_i32 s17, s16, 31
	s_lshl_b64 s[18:19], s[16:17], 2
	s_add_u32 s16, s30, s18
	s_addc_u32 s17, s31, s19
	global_load_dword v1, v26, s[16:17]
	s_waitcnt vmcnt(0)
	v_cmp_eq_u32_e32 vcc, -1, v1
	v_readfirstlane_b32 s66, v1
	v_cmp_ne_u32_e64 s[16:17], -1, v1
	s_cbranch_vccnz .LBB5_11
; %bb.14:                               ;   in Loop: Header=BB5_13 Depth=1
	s_add_u32 s20, s24, s18
	s_addc_u32 s21, s25, s19
	global_load_dword v1, v26, s[20:21] offset:4
	s_add_u32 s18, s40, s18
	s_addc_u32 s19, s41, s19
	s_waitcnt vmcnt(0)
	v_readfirstlane_b32 s67, v1
.LBB5_15:                               ;   Parent Loop BB5_13 Depth=1
                                        ; =>  This Inner Loop Header: Depth=2
	global_load_dword v1, v26, s[18:19] sc1
	s_waitcnt vmcnt(0)
	v_cmp_eq_u32_e32 vcc, 0, v1
	s_cbranch_vccnz .LBB5_15
; %bb.16:                               ;   in Loop: Header=BB5_13 Depth=1
	buffer_inv sc1
	s_and_saveexec_b64 s[18:19], s[0:1]
	s_cbranch_execz .LBB5_33
; %bb.17:                               ;   in Loop: Header=BB5_13 Depth=1
	s_mul_i32 s53, s66, s23
	v_add_u32_e32 v1, s53, v18
	s_mov_b32 s69, s53
	s_waitcnt lgkmcnt(0)
	v_mul_lo_u32 v11, s23, v1
	s_mov_b64 s[20:21], 0
	v_mov_b32_e32 v30, v21
	v_mov_b32_e32 v31, v22
	;; [unrolled: 1-line block ×3, first 2 shown]
	s_branch .LBB5_19
.LBB5_18:                               ;   in Loop: Header=BB5_19 Depth=2
	s_or_b64 exec, exec, s[58:59]
	v_add_u32_e32 v10, 64, v10
	v_cmp_le_i32_e32 vcc, s23, v10
	v_add_u32_e32 v31, 0x100, v31
	v_add_u32_e32 v11, s49, v11
	s_or_b64 s[20:21], vcc, s[20:21]
	v_add_u32_e32 v30, 0x100, v30
	s_andn2_b64 exec, exec, s[20:21]
	s_cbranch_execz .LBB5_33
.LBB5_19:                               ;   Parent Loop BB5_13 Depth=1
                                        ; =>  This Loop Header: Depth=2
                                        ;       Child Loop BB5_22 Depth 3
                                        ;       Child Loop BB5_29 Depth 3
	s_and_saveexec_b64 s[58:59], s[4:5]
	s_cbranch_execz .LBB5_18
; %bb.20:                               ;   in Loop: Header=BB5_19 Depth=2
	s_mov_b64 s[62:63], -1
	v_mov_b32_e32 v1, v4
	v_mov_b32_e32 v12, v20
	s_and_saveexec_b64 s[60:61], s[12:13]
	s_cbranch_execz .LBB5_26
; %bb.21:                               ;   in Loop: Header=BB5_19 Depth=2
	v_add_u32_e32 v1, s53, v10
	v_mul_lo_u32 v12, v1, s23
	v_mov_b32_e32 v1, v12
	s_mov_b64 s[62:63], 0
	v_mov_b32_e32 v13, v31
	v_mov_b32_e32 v32, v7
	v_mov_b64_e32 v[14:15], v[4:5]
.LBB5_22:                               ;   Parent Loop BB5_13 Depth=1
                                        ;     Parent Loop BB5_19 Depth=2
                                        ; =>    This Inner Loop Header: Depth=3
	v_add_u32_e32 v33, s53, v14
	v_add_u32_e32 v34, s69, v15
	;; [unrolled: 1-line block ×4, first 2 shown]
	v_mad_u64_u32 v[34:35], s[64:65], v34, s47, v[10:11]
	v_mad_u64_u32 v[36:37], s[64:65], v33, s23, v[10:11]
	v_cndmask_b32_e64 v36, v36, v39, s[6:7]
	v_cndmask_b32_e64 v34, v34, v38, s[6:7]
	v_ashrrev_i32_e32 v35, 31, v34
	v_ashrrev_i32_e32 v37, 31, v36
	v_lshl_add_u64 v[36:37], v[36:37], 2, s[28:29]
	v_lshl_add_u64 v[34:35], v[34:35], 2, s[28:29]
	global_load_dword v33, v[36:37], off
	s_nop 0
	global_load_dword v34, v[34:35], off
	v_add_u32_e32 v32, -2, v32
	v_cmp_eq_u32_e32 vcc, 0, v32
	v_add_u32_e32 v15, 2, v15
	v_add_u32_e32 v14, 2, v14
	s_or_b64 s[62:63], vcc, s[62:63]
	s_waitcnt vmcnt(0)
	ds_write2_b32 v13, v33, v34 offset1:65
	v_add_u32_e32 v13, 0x208, v13
	s_andn2_b64 exec, exec, s[62:63]
	s_cbranch_execnz .LBB5_22
; %bb.23:                               ;   in Loop: Header=BB5_19 Depth=2
	s_or_b64 exec, exec, s[62:63]
	s_mov_b64 s[62:63], 0
	s_and_saveexec_b64 s[64:65], s[14:15]
; %bb.24:                               ;   in Loop: Header=BB5_19 Depth=2
	s_mov_b64 s[62:63], exec
; %bb.25:                               ;   in Loop: Header=BB5_19 Depth=2
	s_or_b64 exec, exec, s[64:65]
	s_orn2_b64 s[62:63], s[62:63], exec
	v_mov_b32_e32 v1, v19
	v_mov_b32_e32 v12, v27
.LBB5_26:                               ;   in Loop: Header=BB5_19 Depth=2
	s_or_b64 exec, exec, s[60:61]
	s_and_b64 exec, exec, s[62:63]
	s_cbranch_execz .LBB5_18
; %bb.27:                               ;   in Loop: Header=BB5_19 Depth=2
	v_add_u32_e32 v14, v30, v12
	s_mov_b64 s[60:61], 0
	s_branch .LBB5_29
.LBB5_28:                               ;   in Loop: Header=BB5_29 Depth=3
	v_ashrrev_i32_e32 v13, 31, v12
	v_lshl_add_u64 v[12:13], v[12:13], 2, s[28:29]
	global_load_dword v12, v[12:13], off
	v_add_u32_e32 v1, 1, v1
	v_cmp_le_i32_e32 vcc, s23, v1
	s_or_b64 s[60:61], vcc, s[60:61]
	s_waitcnt vmcnt(0)
	ds_write_b32 v14, v12
	v_add_u32_e32 v14, 0x104, v14
	s_andn2_b64 exec, exec, s[60:61]
	s_cbranch_execz .LBB5_18
.LBB5_29:                               ;   Parent Loop BB5_13 Depth=1
                                        ;     Parent Loop BB5_19 Depth=2
                                        ; =>    This Inner Loop Header: Depth=3
	s_mov_b64 s[62:63], -1
	s_and_b64 vcc, exec, s[54:55]
                                        ; implicit-def: $vgpr12
	s_cbranch_vccz .LBB5_31
; %bb.30:                               ;   in Loop: Header=BB5_29 Depth=3
	v_add_u32_e32 v12, s53, v1
	v_mad_u64_u32 v[12:13], s[62:63], v12, s23, v[10:11]
	s_mov_b64 s[62:63], 0
.LBB5_31:                               ;   in Loop: Header=BB5_29 Depth=3
	s_andn2_b64 vcc, exec, s[62:63]
	s_cbranch_vccnz .LBB5_28
; %bb.32:                               ;   in Loop: Header=BB5_29 Depth=3
	v_add_u32_e32 v12, v11, v1
	s_branch .LBB5_28
.LBB5_33:                               ;   in Loop: Header=BB5_13 Depth=1
	s_or_b64 exec, exec, s[18:19]
	s_andn2_b64 vcc, exec, s[56:57]
	s_mul_i32 s53, s52, s23
	s_waitcnt lgkmcnt(0)
	s_cbranch_vccnz .LBB5_56
; %bb.34:                               ;   in Loop: Header=BB5_13 Depth=1
	s_mov_b32 s69, 0
	v_mov_b32_e32 v1, v25
	v_mov_b32_e32 v11, v24
	s_branch .LBB5_36
.LBB5_35:                               ;   in Loop: Header=BB5_36 Depth=2
	s_or_b64 exec, exec, s[58:59]
	s_add_i32 s69, s69, 1
	v_add_u32_e32 v11, 1, v11
	s_cmp_eq_u32 s69, s23
	v_add_u32_e32 v1, 0x108, v1
	s_cbranch_scc1 .LBB5_56
.LBB5_36:                               ;   Parent Loop BB5_13 Depth=1
                                        ; =>  This Loop Header: Depth=2
                                        ;       Child Loop BB5_39 Depth 3
                                        ;         Child Loop BB5_52 Depth 4
	s_and_saveexec_b64 s[58:59], s[0:1]
	s_cbranch_execz .LBB5_35
; %bb.37:                               ;   in Loop: Header=BB5_36 Depth=2
	s_mul_i32 s18, s69, 0x104
	s_lshl_b32 s19, s69, 2
	s_add_i32 s18, s18, s19
	v_mov_b32_e32 v10, s18
	ds_read_b32 v14, v10
	s_add_i32 s70, s69, s53
	v_add_u32_e32 v15, s69, v5
	s_mul_i32 s70, s70, s23
	v_cmp_gt_i32_e64 s[18:19], s23, v15
	s_mov_b64 s[60:61], 0
	v_mov_b32_e32 v30, v11
	v_mov_b32_e32 v10, v18
	s_branch .LBB5_39
.LBB5_38:                               ;   in Loop: Header=BB5_39 Depth=3
	s_or_b64 exec, exec, s[62:63]
	v_add_u32_e32 v10, 64, v10
	v_cmp_le_i32_e32 vcc, s23, v10
	s_or_b64 s[60:61], vcc, s[60:61]
	v_add_u32_e32 v30, s49, v30
	s_andn2_b64 exec, exec, s[60:61]
	s_cbranch_execz .LBB5_35
.LBB5_39:                               ;   Parent Loop BB5_13 Depth=1
                                        ;     Parent Loop BB5_36 Depth=2
                                        ; =>    This Loop Header: Depth=3
                                        ;         Child Loop BB5_52 Depth 4
	s_mov_b64 s[20:21], -1
	s_and_b64 vcc, exec, s[54:55]
                                        ; implicit-def: $vgpr12
	s_cbranch_vccz .LBB5_41
; %bb.40:                               ;   in Loop: Header=BB5_39 Depth=3
	v_add_u32_e32 v12, s70, v10
	s_mov_b64 s[20:21], 0
.LBB5_41:                               ;   in Loop: Header=BB5_39 Depth=3
	s_andn2_b64 vcc, exec, s[20:21]
	s_cbranch_vccnz .LBB5_43
; %bb.42:                               ;   in Loop: Header=BB5_39 Depth=3
	v_add_u32_e32 v12, s53, v10
	v_mul_lo_u32 v12, v12, s23
	v_add_u32_e32 v12, s69, v12
.LBB5_43:                               ;   in Loop: Header=BB5_39 Depth=3
	v_ashrrev_i32_e32 v13, 31, v12
	v_lshl_add_u64 v[12:13], v[12:13], 2, s[28:29]
	global_load_dword v12, v[12:13], off
	s_waitcnt vmcnt(0) lgkmcnt(0)
	v_div_scale_f32 v13, s[20:21], v14, v14, v12
	v_rcp_f32_e32 v31, v13
	v_div_scale_f32 v32, vcc, v12, v14, v12
	v_fma_f32 v33, -v13, v31, 1.0
	v_fmac_f32_e32 v31, v33, v31
	v_mul_f32_e32 v33, v32, v31
	v_fma_f32 v34, -v13, v33, v32
	v_fmac_f32_e32 v33, v34, v31
	v_fma_f32 v13, -v13, v33, v32
	v_div_fmas_f32 v13, v13, v31, v33
	v_div_fixup_f32 v31, v13, v14, v12
	s_and_saveexec_b64 s[20:21], s[8:9]
	s_cbranch_execz .LBB5_49
; %bb.44:                               ;   in Loop: Header=BB5_39 Depth=3
	s_mov_b64 s[62:63], -1
	s_and_b64 vcc, exec, s[54:55]
                                        ; implicit-def: $vgpr12
	s_cbranch_vccz .LBB5_46
; %bb.45:                               ;   in Loop: Header=BB5_39 Depth=3
	v_add_u32_e32 v12, s70, v10
	s_mov_b64 s[62:63], 0
.LBB5_46:                               ;   in Loop: Header=BB5_39 Depth=3
	s_andn2_b64 vcc, exec, s[62:63]
	s_cbranch_vccnz .LBB5_48
; %bb.47:                               ;   in Loop: Header=BB5_39 Depth=3
	v_add_u32_e32 v12, s53, v10
	v_mul_lo_u32 v12, v12, s23
	v_add_u32_e32 v12, s69, v12
.LBB5_48:                               ;   in Loop: Header=BB5_39 Depth=3
	v_ashrrev_i32_e32 v13, 31, v12
	v_lshl_add_u64 v[12:13], v[12:13], 2, s[28:29]
	global_store_dword v[12:13], v31, off
.LBB5_49:                               ;   in Loop: Header=BB5_39 Depth=3
	s_or_b64 exec, exec, s[20:21]
	s_and_saveexec_b64 s[62:63], s[18:19]
	s_cbranch_execz .LBB5_38
; %bb.50:                               ;   in Loop: Header=BB5_39 Depth=3
	s_mov_b64 s[64:65], 0
	v_mov_b32_e32 v32, v1
	v_mov_b32_e32 v33, v30
	v_mov_b32_e32 v34, v15
	s_branch .LBB5_52
.LBB5_51:                               ;   in Loop: Header=BB5_52 Depth=4
	v_add_u32_e32 v34, 1, v34
	v_ashrrev_i32_e32 v13, 31, v12
	v_cmp_le_i32_e32 vcc, s23, v34
	s_waitcnt vmcnt(0) lgkmcnt(0)
	v_fma_f32 v35, -v31, v35, v37
	v_lshl_add_u64 v[12:13], v[12:13], 2, s[28:29]
	v_add_u32_e32 v33, 1, v33
	s_or_b64 s[64:65], vcc, s[64:65]
	v_add_u32_e32 v32, 0x104, v32
	global_store_dword v[12:13], v35, off
	s_andn2_b64 exec, exec, s[64:65]
	s_cbranch_execz .LBB5_38
.LBB5_52:                               ;   Parent Loop BB5_13 Depth=1
                                        ;     Parent Loop BB5_36 Depth=2
                                        ;       Parent Loop BB5_39 Depth=3
                                        ; =>      This Inner Loop Header: Depth=4
	ds_read_b32 v35, v32
	v_cmp_ne_u32_e64 s[20:21], 1, v28
	s_andn2_b64 vcc, exec, s[54:55]
	v_add_u32_e32 v36, s53, v34
	v_mov_b32_e32 v12, v33
	s_cbranch_vccnz .LBB5_54
; %bb.53:                               ;   in Loop: Header=BB5_52 Depth=4
	v_mad_u64_u32 v[12:13], s[72:73], v36, s23, v[10:11]
.LBB5_54:                               ;   in Loop: Header=BB5_52 Depth=4
	v_ashrrev_i32_e32 v13, 31, v12
	v_lshl_add_u64 v[12:13], v[12:13], 2, s[28:29]
	global_load_dword v37, v[12:13], off
	s_and_b64 vcc, exec, s[20:21]
	v_mov_b32_e32 v12, v33
	s_cbranch_vccnz .LBB5_51
; %bb.55:                               ;   in Loop: Header=BB5_52 Depth=4
	v_mad_u64_u32 v[12:13], s[20:21], v36, s23, v[10:11]
	s_branch .LBB5_51
.LBB5_56:                               ;   in Loop: Header=BB5_13 Depth=1
	s_sub_i32 s69, s67, s22
	s_add_i32 s18, s66, 1
	s_cmp_ge_i32 s18, s69
	s_cbranch_scc1 .LBB5_12
; %bb.57:                               ;   in Loop: Header=BB5_13 Depth=1
	s_mul_i32 s19, s23, s18
	v_add_u32_e32 v1, s19, v18
	v_mul_lo_u32 v30, s23, v1
	s_branch .LBB5_61
.LBB5_58:                               ;   in Loop: Header=BB5_61 Depth=2
	s_or_b64 exec, exec, s[58:59]
.LBB5_59:                               ;   in Loop: Header=BB5_61 Depth=2
	s_or_b64 exec, exec, s[20:21]
.LBB5_60:                               ;   in Loop: Header=BB5_61 Depth=2
	s_add_i32 s18, s18, 1
	s_cmp_lt_i32 s18, s69
	v_add_u32_e32 v30, s68, v30
	s_cbranch_scc0 .LBB5_12
.LBB5_61:                               ;   Parent Loop BB5_13 Depth=1
                                        ; =>  This Loop Header: Depth=2
                                        ;       Child Loop BB5_66 Depth 3
                                        ;       Child Loop BB5_75 Depth 3
                                        ;         Child Loop BB5_78 Depth 4
                                        ;         Child Loop BB5_85 Depth 4
                                        ;       Child Loop BB5_91 Depth 3
                                        ;         Child Loop BB5_94 Depth 4
                                        ;           Child Loop BB5_96 Depth 5
	s_ashr_i32 s19, s18, 31
	s_lshl_b64 s[20:21], s[18:19], 2
	s_add_u32 s20, s26, s20
	s_addc_u32 s21, s27, s21
	global_load_dword v1, v26, s[20:21]
	s_waitcnt lgkmcnt(0)
	v_mov_b32_e32 v11, s39
	s_and_saveexec_b64 s[20:21], s[10:11]
	s_cbranch_execz .LBB5_63
; %bb.62:                               ;   in Loop: Header=BB5_61 Depth=2
	global_load_dword v10, v[8:9], off
	s_waitcnt vmcnt(0)
	v_subrev_u32_e32 v11, s22, v10
.LBB5_63:                               ;   in Loop: Header=BB5_61 Depth=2
	s_or_b64 exec, exec, s[20:21]
	s_waitcnt vmcnt(0)
	v_subrev_u32_e32 v1, s22, v1
	v_cmp_lt_i32_e32 vcc, v11, v1
	v_mov_b32_e32 v12, v6
	s_and_saveexec_b64 s[20:21], vcc
	s_cbranch_execz .LBB5_69
; %bb.64:                               ;   in Loop: Header=BB5_61 Depth=2
	s_mov_b64 s[58:59], 0
	v_mov_b32_e32 v10, v6
	s_branch .LBB5_66
.LBB5_65:                               ;   in Loop: Header=BB5_66 Depth=3
	s_or_b64 exec, exec, s[60:61]
	v_cmp_ge_i32_e32 vcc, v11, v1
	s_or_b64 s[58:59], vcc, s[58:59]
	v_mov_b32_e32 v10, v12
	s_andn2_b64 exec, exec, s[58:59]
	s_cbranch_execz .LBB5_68
.LBB5_66:                               ;   Parent Loop BB5_13 Depth=1
                                        ;     Parent Loop BB5_61 Depth=2
                                        ; =>    This Inner Loop Header: Depth=3
	v_add_u32_e32 v12, 64, v10
	v_cmp_gt_i32_e32 vcc, s33, v12
	v_mov_b32_e32 v11, s39
	s_and_saveexec_b64 s[60:61], vcc
	s_cbranch_execz .LBB5_65
; %bb.67:                               ;   in Loop: Header=BB5_66 Depth=3
	v_ashrrev_i32_e32 v11, 31, v10
	v_lshl_add_u64 v[10:11], v[10:11], 2, s[26:27]
	global_load_dword v10, v[10:11], off offset:256
	s_waitcnt vmcnt(0)
	v_subrev_u32_e32 v11, s22, v10
	s_branch .LBB5_65
.LBB5_68:                               ;   in Loop: Header=BB5_61 Depth=2
	s_or_b64 exec, exec, s[58:59]
.LBB5_69:                               ;   in Loop: Header=BB5_61 Depth=2
	s_or_b64 exec, exec, s[20:21]
	v_cmp_eq_u32_e32 vcc, v11, v1
	s_cbranch_vccz .LBB5_60
; %bb.70:                               ;   in Loop: Header=BB5_61 Depth=2
	s_ff1_i32_b64 s19, vcc
	v_and_or_b32 v1, v29, 64, s19
	v_lshlrev_b32_e32 v1, 2, v1
	ds_bpermute_b32 v11, v1, v12
	s_and_saveexec_b64 s[20:21], s[2:3]
	s_xor_b64 s[20:21], exec, s[20:21]
	s_cbranch_execz .LBB5_72
; %bb.71:                               ;   in Loop: Header=BB5_61 Depth=2
	s_waitcnt lgkmcnt(0)
                                        ; implicit-def: $vgpr11
.LBB5_72:                               ;   in Loop: Header=BB5_61 Depth=2
	s_andn2_saveexec_b64 s[20:21], s[20:21]
	s_cbranch_execz .LBB5_59
; %bb.73:                               ;   in Loop: Header=BB5_61 Depth=2
	s_mul_i32 s19, s18, s23
	s_mov_b32 s70, s19
	s_mov_b64 s[58:59], 0
	v_mov_b32_e32 v31, v21
	v_mov_b32_e32 v32, v30
	;; [unrolled: 1-line block ×4, first 2 shown]
	s_branch .LBB5_75
.LBB5_74:                               ;   in Loop: Header=BB5_75 Depth=3
	s_or_b64 exec, exec, s[60:61]
	v_add_u32_e32 v10, 64, v10
	v_cmp_le_i32_e32 vcc, s23, v10
	v_add_u32_e32 v33, 0x100, v33
	v_add_u32_e32 v32, s49, v32
	s_or_b64 s[58:59], vcc, s[58:59]
	v_add_u32_e32 v31, 0x100, v31
	s_andn2_b64 exec, exec, s[58:59]
	s_cbranch_execz .LBB5_89
.LBB5_75:                               ;   Parent Loop BB5_13 Depth=1
                                        ;     Parent Loop BB5_61 Depth=2
                                        ; =>    This Loop Header: Depth=3
                                        ;         Child Loop BB5_78 Depth 4
                                        ;         Child Loop BB5_85 Depth 4
	s_and_saveexec_b64 s[60:61], s[4:5]
	s_cbranch_execz .LBB5_74
; %bb.76:                               ;   in Loop: Header=BB5_75 Depth=3
	s_mov_b64 s[64:65], -1
	v_mov_b32_e32 v1, v4
	v_mov_b32_e32 v12, v20
	s_and_saveexec_b64 s[62:63], s[12:13]
	s_cbranch_execz .LBB5_82
; %bb.77:                               ;   in Loop: Header=BB5_75 Depth=3
	v_add_u32_e32 v1, s19, v10
	v_mul_lo_u32 v12, v1, s23
	v_mov_b32_e32 v1, v12
	s_mov_b64 s[64:65], 0
	v_mov_b32_e32 v13, v33
	v_mov_b32_e32 v34, v7
	v_mov_b64_e32 v[14:15], v[4:5]
.LBB5_78:                               ;   Parent Loop BB5_13 Depth=1
                                        ;     Parent Loop BB5_61 Depth=2
                                        ;       Parent Loop BB5_75 Depth=3
                                        ; =>      This Inner Loop Header: Depth=4
	v_add_u32_e32 v35, s19, v14
	v_add_u32_e32 v36, s70, v15
	;; [unrolled: 1-line block ×4, first 2 shown]
	s_waitcnt lgkmcnt(0)
	v_mad_u64_u32 v[36:37], s[66:67], v36, s47, v[10:11]
	v_mad_u64_u32 v[38:39], s[66:67], v35, s23, v[10:11]
	v_cndmask_b32_e64 v38, v38, v41, s[6:7]
	v_cndmask_b32_e64 v36, v36, v40, s[6:7]
	v_ashrrev_i32_e32 v37, 31, v36
	v_ashrrev_i32_e32 v39, 31, v38
	v_lshl_add_u64 v[38:39], v[38:39], 2, s[28:29]
	v_lshl_add_u64 v[36:37], v[36:37], 2, s[28:29]
	global_load_dword v35, v[38:39], off
	s_nop 0
	global_load_dword v36, v[36:37], off
	v_add_u32_e32 v34, -2, v34
	v_cmp_eq_u32_e32 vcc, 0, v34
	v_add_u32_e32 v15, 2, v15
	v_add_u32_e32 v14, 2, v14
	s_or_b64 s[64:65], vcc, s[64:65]
	s_waitcnt vmcnt(0)
	ds_write2_b32 v13, v35, v36 offset1:65
	v_add_u32_e32 v13, 0x208, v13
	s_andn2_b64 exec, exec, s[64:65]
	s_cbranch_execnz .LBB5_78
; %bb.79:                               ;   in Loop: Header=BB5_75 Depth=3
	s_or_b64 exec, exec, s[64:65]
	s_mov_b64 s[64:65], 0
	s_and_saveexec_b64 s[66:67], s[14:15]
; %bb.80:                               ;   in Loop: Header=BB5_75 Depth=3
	s_mov_b64 s[64:65], exec
; %bb.81:                               ;   in Loop: Header=BB5_75 Depth=3
	s_or_b64 exec, exec, s[66:67]
	s_orn2_b64 s[64:65], s[64:65], exec
	v_mov_b32_e32 v1, v19
	v_mov_b32_e32 v12, v27
.LBB5_82:                               ;   in Loop: Header=BB5_75 Depth=3
	s_or_b64 exec, exec, s[62:63]
	s_and_b64 exec, exec, s[64:65]
	s_cbranch_execz .LBB5_74
; %bb.83:                               ;   in Loop: Header=BB5_75 Depth=3
	v_add_u32_e32 v14, v31, v12
	s_mov_b64 s[62:63], 0
	s_branch .LBB5_85
.LBB5_84:                               ;   in Loop: Header=BB5_85 Depth=4
	v_ashrrev_i32_e32 v13, 31, v12
	v_lshl_add_u64 v[12:13], v[12:13], 2, s[28:29]
	global_load_dword v12, v[12:13], off
	v_add_u32_e32 v1, 1, v1
	v_cmp_le_i32_e32 vcc, s23, v1
	s_or_b64 s[62:63], vcc, s[62:63]
	s_waitcnt vmcnt(0)
	ds_write_b32 v14, v12
	v_add_u32_e32 v14, 0x104, v14
	s_andn2_b64 exec, exec, s[62:63]
	s_cbranch_execz .LBB5_74
.LBB5_85:                               ;   Parent Loop BB5_13 Depth=1
                                        ;     Parent Loop BB5_61 Depth=2
                                        ;       Parent Loop BB5_75 Depth=3
                                        ; =>      This Inner Loop Header: Depth=4
	s_mov_b64 s[64:65], -1
	s_and_b64 vcc, exec, s[54:55]
                                        ; implicit-def: $vgpr12
	s_cbranch_vccz .LBB5_87
; %bb.86:                               ;   in Loop: Header=BB5_85 Depth=4
	v_add_u32_e32 v12, s19, v1
	s_waitcnt lgkmcnt(0)
	v_mad_u64_u32 v[12:13], s[64:65], v12, s23, v[10:11]
	s_mov_b64 s[64:65], 0
.LBB5_87:                               ;   in Loop: Header=BB5_85 Depth=4
	s_andn2_b64 vcc, exec, s[64:65]
	s_cbranch_vccnz .LBB5_84
; %bb.88:                               ;   in Loop: Header=BB5_85 Depth=4
	v_add_u32_e32 v12, v32, v1
	s_branch .LBB5_84
.LBB5_89:                               ;   in Loop: Header=BB5_61 Depth=2
	s_or_b64 exec, exec, s[58:59]
	s_waitcnt lgkmcnt(0)
	v_mul_lo_u32 v1, v11, s23
	s_mov_b64 s[58:59], 0
	v_mov_b32_e32 v11, v23
	v_mov_b32_e32 v10, v18
	s_branch .LBB5_91
.LBB5_90:                               ;   in Loop: Header=BB5_91 Depth=3
	s_or_b64 exec, exec, s[60:61]
	v_add_u32_e32 v10, 64, v10
	v_cmp_le_i32_e32 vcc, s23, v10
	s_or_b64 s[58:59], vcc, s[58:59]
	v_add_u32_e32 v11, s49, v11
	s_andn2_b64 exec, exec, s[58:59]
	s_cbranch_execz .LBB5_58
.LBB5_91:                               ;   Parent Loop BB5_13 Depth=1
                                        ;     Parent Loop BB5_61 Depth=2
                                        ; =>    This Loop Header: Depth=3
                                        ;         Child Loop BB5_94 Depth 4
                                        ;           Child Loop BB5_96 Depth 5
	s_and_saveexec_b64 s[60:61], s[4:5]
	s_cbranch_execz .LBB5_90
; %bb.92:                               ;   in Loop: Header=BB5_91 Depth=3
	v_add_u32_e32 v12, v10, v1
	v_mul_lo_u32 v14, v12, s23
	s_mov_b64 s[62:63], 0
	v_mov_b32_e32 v15, v20
	v_mov_b32_e32 v31, v4
	s_branch .LBB5_94
.LBB5_93:                               ;   in Loop: Header=BB5_94 Depth=4
	v_ashrrev_i32_e32 v13, 31, v12
	v_lshl_add_u64 v[12:13], v[12:13], 2, s[28:29]
	global_load_dword v33, v[12:13], off
	v_add_u32_e32 v31, 1, v31
	v_cmp_le_i32_e32 vcc, s23, v31
	s_or_b64 s[62:63], vcc, s[62:63]
	v_add_u32_e32 v15, 0x104, v15
	s_waitcnt vmcnt(0)
	v_sub_f32_e32 v32, v33, v32
	global_store_dword v[12:13], v32, off
	s_andn2_b64 exec, exec, s[62:63]
	s_cbranch_execz .LBB5_90
.LBB5_94:                               ;   Parent Loop BB5_13 Depth=1
                                        ;     Parent Loop BB5_61 Depth=2
                                        ;       Parent Loop BB5_91 Depth=3
                                        ; =>      This Loop Header: Depth=4
                                        ;           Child Loop BB5_96 Depth 5
	v_mov_b32_e32 v32, 0
	s_mov_b32 s19, 0
	v_mov_b32_e32 v33, v15
	s_branch .LBB5_96
.LBB5_95:                               ;   in Loop: Header=BB5_96 Depth=5
	v_ashrrev_i32_e32 v13, 31, v12
	v_lshl_add_u64 v[12:13], v[12:13], 2, s[28:29]
	global_load_dword v12, v[12:13], off
	ds_read_b32 v13, v33
	s_add_i32 s19, s19, 1
	s_cmp_eq_u32 s23, s19
	v_add_u32_e32 v33, 4, v33
	s_waitcnt vmcnt(0) lgkmcnt(0)
	v_fmac_f32_e32 v32, v12, v13
	s_cbranch_scc1 .LBB5_100
.LBB5_96:                               ;   Parent Loop BB5_13 Depth=1
                                        ;     Parent Loop BB5_61 Depth=2
                                        ;       Parent Loop BB5_91 Depth=3
                                        ;         Parent Loop BB5_94 Depth=4
                                        ; =>        This Inner Loop Header: Depth=5
	s_mov_b64 s[64:65], -1
	s_and_b64 vcc, exec, s[54:55]
                                        ; implicit-def: $vgpr12
	s_cbranch_vccz .LBB5_98
; %bb.97:                               ;   in Loop: Header=BB5_96 Depth=5
	s_add_i32 s64, s19, s53
	s_mul_i32 s64, s64, s23
	v_add_u32_e32 v12, s64, v10
	s_mov_b64 s[64:65], 0
.LBB5_98:                               ;   in Loop: Header=BB5_96 Depth=5
	s_andn2_b64 vcc, exec, s[64:65]
	s_cbranch_vccnz .LBB5_95
; %bb.99:                               ;   in Loop: Header=BB5_96 Depth=5
	v_add_u32_e32 v12, s19, v11
	s_branch .LBB5_95
.LBB5_100:                              ;   in Loop: Header=BB5_94 Depth=4
	s_mov_b64 s[64:65], -1
	s_and_b64 vcc, exec, s[54:55]
                                        ; implicit-def: $vgpr12
	s_cbranch_vccz .LBB5_102
; %bb.101:                              ;   in Loop: Header=BB5_94 Depth=4
	v_add_u32_e32 v12, v31, v1
	v_mad_u64_u32 v[12:13], s[64:65], v12, s23, v[10:11]
	s_mov_b64 s[64:65], 0
.LBB5_102:                              ;   in Loop: Header=BB5_94 Depth=4
	s_andn2_b64 vcc, exec, s[64:65]
	s_cbranch_vccnz .LBB5_93
; %bb.103:                              ;   in Loop: Header=BB5_94 Depth=4
	v_add_u32_e32 v12, v31, v14
	s_branch .LBB5_93
.LBB5_104:
	s_ashr_i32 s47, s46, 31
	s_lshl_b64 s[0:1], s[46:47], 2
	s_add_u32 s0, s26, s0
	s_addc_u32 s1, s27, s1
	v_mov_b32_e32 v1, 0
	s_waitcnt lgkmcnt(0)
	global_load_dword v1, v1, s[0:1]
	s_waitcnt vmcnt(0)
	v_subrev_u32_e32 v1, s22, v1
	v_cmp_ne_u32_e32 vcc, s38, v1
	s_cbranch_vccnz .LBB5_163
; %bb.105:
	v_and_b32_e32 v4, 0x3ff, v0
	v_cmp_gt_i32_e64 s[0:1], s23, v4
	v_lshlrev_b32_e32 v5, 2, v4
	s_and_saveexec_b64 s[10:11], s[0:1]
	s_cbranch_execz .LBB5_123
; %bb.106:
	v_bfe_u32 v6, v0, 10, 10
	v_sub_u32_e32 v1, s23, v6
	s_cmp_lg_u32 s48, 0
	s_mul_i32 s26, s46, s23
	v_and_b32_e32 v9, -2, v1
	s_cselect_b64 s[12:13], -1, 0
	s_cmp_eq_u32 s48, 0
	v_cmp_lt_u32_e64 s[6:7], 1, v1
	v_add_u32_e32 v14, v6, v9
	v_cmp_ne_u32_e64 s[8:9], v1, v9
	s_movk_i32 s16, 0x104
	v_lshlrev_b32_e32 v18, 2, v4
	v_add_u32_e32 v1, s26, v4
	v_cmp_gt_u32_e64 s[2:3], s23, v6
	s_cselect_b64 s[4:5], -1, 0
	s_mov_b32 s27, s26
	s_mov_b32 s30, s23
	v_add_u32_e32 v7, 1, v6
	v_mul_u32_u24_e32 v15, 0x104, v6
	v_mad_u32_u24 v19, v6, s16, v18
	v_mul_lo_u32 v20, s23, v1
	s_lshl_b32 s31, s23, 6
	s_mov_b64 s[14:15], 0
	v_mul_lo_u32 v21, v14, s16
	v_mov_b32_e32 v8, v4
	s_branch .LBB5_108
.LBB5_107:                              ;   in Loop: Header=BB5_108 Depth=1
	s_or_b64 exec, exec, s[16:17]
	v_add_u32_e32 v8, 64, v8
	v_cmp_le_i32_e32 vcc, s23, v8
	v_add_u32_e32 v19, 0x100, v19
	v_add_u32_e32 v20, s31, v20
	s_or_b64 s[14:15], vcc, s[14:15]
	v_add_u32_e32 v18, 0x100, v18
	s_andn2_b64 exec, exec, s[14:15]
	s_cbranch_execz .LBB5_123
.LBB5_108:                              ; =>This Loop Header: Depth=1
                                        ;     Child Loop BB5_111 Depth 2
                                        ;     Child Loop BB5_118 Depth 2
	s_and_saveexec_b64 s[16:17], s[2:3]
	s_cbranch_execz .LBB5_107
; %bb.109:                              ;   in Loop: Header=BB5_108 Depth=1
	s_mov_b64 s[20:21], -1
	v_mov_b32_e32 v1, v6
	v_mov_b32_e32 v10, v15
	s_and_saveexec_b64 s[18:19], s[6:7]
	s_cbranch_execz .LBB5_115
; %bb.110:                              ;   in Loop: Header=BB5_108 Depth=1
	v_add_u32_e32 v1, s26, v8
	v_mul_lo_u32 v10, v1, s23
	v_mov_b32_e32 v1, v10
	s_mov_b64 s[20:21], 0
	v_mov_b32_e32 v11, v19
	v_mov_b32_e32 v22, v9
	v_mov_b64_e32 v[12:13], v[6:7]
.LBB5_111:                              ;   Parent Loop BB5_108 Depth=1
                                        ; =>  This Inner Loop Header: Depth=2
	v_add_u32_e32 v23, s26, v12
	v_add_u32_e32 v24, s27, v13
	;; [unrolled: 1-line block ×3, first 2 shown]
	v_mad_u64_u32 v[26:27], s[24:25], v23, s23, v[8:9]
	v_add_u32_e32 v28, v13, v1
	v_mad_u64_u32 v[24:25], s[24:25], v24, s30, v[8:9]
	v_cndmask_b32_e64 v26, v26, v29, s[4:5]
	v_cndmask_b32_e64 v24, v24, v28, s[4:5]
	v_ashrrev_i32_e32 v27, 31, v26
	v_ashrrev_i32_e32 v25, 31, v24
	v_lshl_add_u64 v[26:27], v[26:27], 2, s[28:29]
	v_lshl_add_u64 v[24:25], v[24:25], 2, s[28:29]
	global_load_dword v23, v[26:27], off
	global_load_dword v28, v[24:25], off
	v_add_u32_e32 v22, -2, v22
	v_cmp_eq_u32_e32 vcc, 0, v22
	v_add_u32_e32 v13, 2, v13
	v_add_u32_e32 v12, 2, v12
	s_or_b64 s[20:21], vcc, s[20:21]
	s_waitcnt vmcnt(0)
	ds_write2_b32 v11, v23, v28 offset1:65
	v_add_u32_e32 v11, 0x208, v11
	s_andn2_b64 exec, exec, s[20:21]
	s_cbranch_execnz .LBB5_111
; %bb.112:                              ;   in Loop: Header=BB5_108 Depth=1
	s_or_b64 exec, exec, s[20:21]
	s_mov_b64 s[20:21], 0
	s_and_saveexec_b64 s[24:25], s[8:9]
; %bb.113:                              ;   in Loop: Header=BB5_108 Depth=1
	s_mov_b64 s[20:21], exec
; %bb.114:                              ;   in Loop: Header=BB5_108 Depth=1
	s_or_b64 exec, exec, s[24:25]
	s_orn2_b64 s[20:21], s[20:21], exec
	v_mov_b32_e32 v1, v14
	v_mov_b32_e32 v10, v21
.LBB5_115:                              ;   in Loop: Header=BB5_108 Depth=1
	s_or_b64 exec, exec, s[18:19]
	s_and_b64 exec, exec, s[20:21]
	s_cbranch_execz .LBB5_107
; %bb.116:                              ;   in Loop: Header=BB5_108 Depth=1
	v_add_u32_e32 v12, v18, v10
	s_mov_b64 s[18:19], 0
	s_branch .LBB5_118
.LBB5_117:                              ;   in Loop: Header=BB5_118 Depth=2
	v_ashrrev_i32_e32 v11, 31, v10
	v_lshl_add_u64 v[10:11], v[10:11], 2, s[28:29]
	global_load_dword v10, v[10:11], off
	v_add_u32_e32 v1, 1, v1
	v_cmp_le_i32_e32 vcc, s23, v1
	s_or_b64 s[18:19], vcc, s[18:19]
	s_waitcnt vmcnt(0)
	ds_write_b32 v12, v10
	v_add_u32_e32 v12, 0x104, v12
	s_andn2_b64 exec, exec, s[18:19]
	s_cbranch_execz .LBB5_107
.LBB5_118:                              ;   Parent Loop BB5_108 Depth=1
                                        ; =>  This Inner Loop Header: Depth=2
	s_mov_b64 s[20:21], -1
	s_and_b64 vcc, exec, s[12:13]
                                        ; implicit-def: $vgpr10
	s_cbranch_vccz .LBB5_120
; %bb.119:                              ;   in Loop: Header=BB5_118 Depth=2
	v_add_u32_e32 v10, s26, v1
	v_mad_u64_u32 v[10:11], s[20:21], v10, s23, v[8:9]
	s_mov_b64 s[20:21], 0
.LBB5_120:                              ;   in Loop: Header=BB5_118 Depth=2
	s_andn2_b64 vcc, exec, s[20:21]
	s_cbranch_vccnz .LBB5_117
; %bb.121:                              ;   in Loop: Header=BB5_118 Depth=2
	v_add_u32_e32 v10, v20, v1
	s_branch .LBB5_117
.LBB5_122:
	s_mov_b64 s[44:45], -1
	s_branch .LBB5_212
.LBB5_123:
	s_or_b64 exec, exec, s[10:11]
	s_cmp_lt_i32 s23, 1
	s_waitcnt lgkmcnt(0)
	s_cbranch_scc1 .LBB5_145
; %bb.124:
	s_cmp_eq_u64 s[36:37], 8
	v_cvt_f64_f32_e32 v[6:7], v17
	s_cselect_b64 vcc, -1, 0
	v_bfe_u32 v1, v0, 10, 10
	v_cndmask_b32_e32 v2, v6, v2, vcc
	v_or_b32_e32 v6, v4, v1
	v_cndmask_b32_e32 v3, v7, v3, vcc
	v_cmp_eq_u32_e64 s[2:3], 0, v6
	s_movk_i32 s6, 0x104
	v_mul_u32_u24_e32 v6, 0x104, v1
	v_lshlrev_b32_e32 v7, 2, v4
	s_movk_i32 s7, 0x108
	v_cndmask_b32_e64 v8, 0, 1, s[50:51]
	s_mov_b32 s18, 0
	v_cmp_eq_u32_e64 s[4:5], 0, v1
	v_add3_u32 v6, v6, v7, s7
	v_mad_u32_u24 v7, v1, s6, s6
	v_cmp_ne_u32_e64 s[6:7], 1, v8
.LBB5_125:                              ; =>This Loop Header: Depth=1
                                        ;     Child Loop BB5_137 Depth 2
                                        ;       Child Loop BB5_141 Depth 3
	s_mul_i32 s19, s18, 0x104
	s_lshl_b32 s8, s18, 2
	s_add_i32 s14, s19, s8
	v_mov_b32_e32 v8, s14
	s_waitcnt lgkmcnt(0)
	ds_read_b32 v9, v8
	s_mov_b64 s[12:13], -1
	s_mov_b64 s[8:9], 0
	s_and_b64 vcc, exec, s[6:7]
	s_mov_b64 s[10:11], 0
                                        ; implicit-def: $vgpr8
	s_cbranch_vccz .LBB5_130
; %bb.126:                              ;   in Loop: Header=BB5_125 Depth=1
	s_andn2_b64 vcc, exec, s[12:13]
	s_cbranch_vccz .LBB5_133
.LBB5_127:                              ;   in Loop: Header=BB5_125 Depth=1
	s_andn2_b64 vcc, exec, s[10:11]
                                        ; implicit-def: $sgpr20
	s_cbranch_vccz .LBB5_134
.LBB5_128:                              ;   in Loop: Header=BB5_125 Depth=1
	s_andn2_b64 vcc, exec, s[8:9]
	s_cbranch_vccz .LBB5_143
.LBB5_129:                              ;   in Loop: Header=BB5_125 Depth=1
	v_add_u32_e32 v6, 0x108, v6
	s_cmp_eq_u32 s20, s23
	v_add_u32_e32 v7, 0x108, v7
	s_cbranch_scc0 .LBB5_144
	s_branch .LBB5_145
.LBB5_130:                              ;   in Loop: Header=BB5_125 Depth=1
	s_waitcnt lgkmcnt(0)
	v_cmp_gt_f32_e32 vcc, 0, v9
	s_nop 1
	v_cndmask_b32_e64 v8, v9, -v9, vcc
	v_cvt_f64_f32_e32 v[10:11], v8
	v_cmp_ge_f64_e32 vcc, v[2:3], v[10:11]
	s_nop 1
	v_cndmask_b32_e32 v8, v9, v16, vcc
	s_and_saveexec_b64 s[10:11], s[2:3]
; %bb.131:                              ;   in Loop: Header=BB5_125 Depth=1
	v_mov_b32_e32 v10, s14
	ds_write_b32 v10, v8
; %bb.132:                              ;   in Loop: Header=BB5_125 Depth=1
	s_or_b64 exec, exec, s[10:11]
	s_mov_b64 s[10:11], -1
	s_cbranch_execnz .LBB5_127
.LBB5_133:                              ;   in Loop: Header=BB5_125 Depth=1
	s_waitcnt lgkmcnt(0)
	v_cmp_neq_f32_e64 s[10:11], 0, v9
	s_mov_b64 s[8:9], -1
	v_mov_b32_e32 v8, v9
	s_andn2_b64 vcc, exec, s[10:11]
                                        ; implicit-def: $sgpr20
	s_cbranch_vccnz .LBB5_128
.LBB5_134:                              ;   in Loop: Header=BB5_125 Depth=1
	s_add_i32 s20, s18, 1
	s_waitcnt lgkmcnt(0)
	v_add_u32_e32 v9, s20, v4
	v_cmp_gt_i32_e32 vcc, s23, v9
	s_and_saveexec_b64 s[10:11], vcc
	s_cbranch_execz .LBB5_142
; %bb.135:                              ;   in Loop: Header=BB5_125 Depth=1
	v_add_u32_e32 v10, s20, v1
	v_cmp_gt_i32_e64 s[8:9], s23, v10
	s_mov_b64 s[12:13], 0
	v_mov_b32_e32 v11, v6
	s_branch .LBB5_137
.LBB5_136:                              ;   in Loop: Header=BB5_137 Depth=2
	s_or_b64 exec, exec, s[14:15]
	v_add_u32_e32 v9, 64, v9
	v_cmp_le_i32_e32 vcc, s23, v9
	s_or_b64 s[12:13], vcc, s[12:13]
	v_add_u32_e32 v11, 0x100, v11
	s_andn2_b64 exec, exec, s[12:13]
	s_cbranch_execz .LBB5_142
.LBB5_137:                              ;   Parent Loop BB5_125 Depth=1
                                        ; =>  This Loop Header: Depth=2
                                        ;       Child Loop BB5_141 Depth 3
	v_lshl_add_u32 v13, v9, 2, s19
	ds_read_b32 v12, v13
	s_waitcnt lgkmcnt(0)
	v_div_scale_f32 v14, s[14:15], v8, v8, v12
	v_rcp_f32_e32 v15, v14
	v_div_scale_f32 v17, vcc, v12, v8, v12
	v_fma_f32 v18, -v14, v15, 1.0
	v_fmac_f32_e32 v15, v18, v15
	v_mul_f32_e32 v18, v17, v15
	v_fma_f32 v19, -v14, v18, v17
	v_fmac_f32_e32 v18, v19, v15
	v_fma_f32 v14, -v14, v18, v17
	v_div_fmas_f32 v14, v14, v15, v18
	v_div_fixup_f32 v12, v14, v8, v12
	s_and_saveexec_b64 s[14:15], s[4:5]
; %bb.138:                              ;   in Loop: Header=BB5_137 Depth=2
	ds_write_b32 v13, v12
; %bb.139:                              ;   in Loop: Header=BB5_137 Depth=2
	s_or_b64 exec, exec, s[14:15]
	s_and_saveexec_b64 s[14:15], s[8:9]
	s_cbranch_execz .LBB5_136
; %bb.140:                              ;   in Loop: Header=BB5_137 Depth=2
	s_mov_b64 s[16:17], 0
	v_mov_b32_e32 v13, v7
	v_mov_b32_e32 v14, v11
	;; [unrolled: 1-line block ×3, first 2 shown]
.LBB5_141:                              ;   Parent Loop BB5_125 Depth=1
                                        ;     Parent Loop BB5_137 Depth=2
                                        ; =>    This Inner Loop Header: Depth=3
	ds_read_b32 v17, v13
	ds_read_b32 v18, v14
	v_add_u32_e32 v15, 1, v15
	v_cmp_le_i32_e32 vcc, s23, v15
	s_or_b64 s[16:17], vcc, s[16:17]
	v_add_u32_e32 v13, 0x104, v13
	s_waitcnt lgkmcnt(0)
	v_fma_f32 v17, -v12, v17, v18
	ds_write_b32 v14, v17
	v_add_u32_e32 v14, 0x104, v14
	s_andn2_b64 exec, exec, s[16:17]
	s_cbranch_execnz .LBB5_141
	s_branch .LBB5_136
.LBB5_142:                              ;   in Loop: Header=BB5_125 Depth=1
	s_or_b64 exec, exec, s[10:11]
	s_cbranch_execnz .LBB5_129
.LBB5_143:                              ;   in Loop: Header=BB5_125 Depth=1
	s_add_i32 s20, s18, 1
	s_mov_b64 s[44:45], -1
	v_add_u32_e32 v6, 0x108, v6
	s_cmp_eq_u32 s20, s23
	v_add_u32_e32 v7, 0x108, v7
	s_cbranch_scc1 .LBB5_145
.LBB5_144:                              ;   in Loop: Header=BB5_125 Depth=1
	s_mov_b32 s18, s20
	s_branch .LBB5_125
.LBB5_145:
	s_waitcnt lgkmcnt(0)
	s_and_saveexec_b64 s[8:9], s[0:1]
	s_cbranch_execz .LBB5_162
; %bb.146:
	v_bfe_u32 v2, v0, 10, 10
	v_sub_u32_e32 v1, s23, v2
	s_cmp_lg_u32 s48, 0
	s_mul_i32 s24, s46, s23
	v_and_b32_e32 v10, -2, v1
	s_cselect_b64 s[10:11], -1, 0
	s_cmp_eq_u32 s48, 0
	v_cmp_lt_u32_e64 s[4:5], 1, v1
	v_add_u32_e32 v11, v2, v10
	v_cmp_ne_u32_e64 s[6:7], v1, v10
	s_movk_i32 s14, 0x104
	v_add_u32_e32 v1, s24, v4
	v_cmp_gt_u32_e64 s[0:1], s23, v2
	s_cselect_b64 s[2:3], -1, 0
	s_mov_b32 s25, s24
	s_mov_b32 s26, s23
	v_add_u32_e32 v3, 1, v2
	v_mul_u32_u24_e32 v12, 0x104, v2
	v_mad_u32_u24 v13, v2, s14, v5
	v_mul_lo_u32 v14, s23, v1
	s_lshl_b32 s27, s23, 6
	s_mov_b64 s[12:13], 0
	v_mul_lo_u32 v15, v11, s14
	s_branch .LBB5_148
.LBB5_147:                              ;   in Loop: Header=BB5_148 Depth=1
	s_or_b64 exec, exec, s[14:15]
	v_add_u32_e32 v4, 64, v4
	v_cmp_le_i32_e32 vcc, s23, v4
	v_add_u32_e32 v13, 0x100, v13
	v_add_u32_e32 v14, s27, v14
	s_or_b64 s[12:13], vcc, s[12:13]
	v_add_u32_e32 v5, 0x100, v5
	s_andn2_b64 exec, exec, s[12:13]
	s_cbranch_execz .LBB5_162
.LBB5_148:                              ; =>This Loop Header: Depth=1
                                        ;     Child Loop BB5_151 Depth 2
                                        ;     Child Loop BB5_158 Depth 2
	s_and_saveexec_b64 s[14:15], s[0:1]
	s_cbranch_execz .LBB5_147
; %bb.149:                              ;   in Loop: Header=BB5_148 Depth=1
	s_mov_b64 s[18:19], -1
	v_mov_b32_e32 v1, v2
	v_mov_b32_e32 v6, v12
	s_and_saveexec_b64 s[16:17], s[4:5]
	s_cbranch_execz .LBB5_155
; %bb.150:                              ;   in Loop: Header=BB5_148 Depth=1
	v_add_u32_e32 v1, s24, v4
	v_mul_lo_u32 v6, v1, s23
	v_mov_b32_e32 v1, v6
	s_mov_b64 s[18:19], 0
	v_mov_b32_e32 v7, v13
	v_mov_b32_e32 v16, v10
	v_mov_b64_e32 v[8:9], v[2:3]
.LBB5_151:                              ;   Parent Loop BB5_148 Depth=1
                                        ; =>  This Inner Loop Header: Depth=2
	ds_read2_b32 v[18:19], v7 offset1:65
	v_add_u32_e32 v17, s24, v8
	v_add_u32_e32 v20, s25, v9
	;; [unrolled: 1-line block ×3, first 2 shown]
	v_mad_u64_u32 v[22:23], s[20:21], v17, s23, v[4:5]
	v_add_u32_e32 v24, v9, v1
	v_add_u32_e32 v16, -2, v16
	v_mad_u64_u32 v[20:21], s[20:21], v20, s26, v[4:5]
	v_cndmask_b32_e64 v22, v22, v25, s[2:3]
	v_cmp_eq_u32_e32 vcc, 0, v16
	v_cndmask_b32_e64 v20, v20, v24, s[2:3]
	v_ashrrev_i32_e32 v23, 31, v22
	v_add_u32_e32 v9, 2, v9
	v_add_u32_e32 v8, 2, v8
	;; [unrolled: 1-line block ×3, first 2 shown]
	s_or_b64 s[18:19], vcc, s[18:19]
	v_ashrrev_i32_e32 v21, 31, v20
	v_lshl_add_u64 v[22:23], v[22:23], 2, s[28:29]
	v_lshl_add_u64 v[20:21], v[20:21], 2, s[28:29]
	s_waitcnt lgkmcnt(0)
	global_store_dword v[22:23], v18, off
	global_store_dword v[20:21], v19, off
	s_andn2_b64 exec, exec, s[18:19]
	s_cbranch_execnz .LBB5_151
; %bb.152:                              ;   in Loop: Header=BB5_148 Depth=1
	s_or_b64 exec, exec, s[18:19]
	s_mov_b64 s[18:19], 0
	s_and_saveexec_b64 s[20:21], s[6:7]
; %bb.153:                              ;   in Loop: Header=BB5_148 Depth=1
	s_mov_b64 s[18:19], exec
; %bb.154:                              ;   in Loop: Header=BB5_148 Depth=1
	s_or_b64 exec, exec, s[20:21]
	s_orn2_b64 s[18:19], s[18:19], exec
	v_mov_b32_e32 v1, v11
	v_mov_b32_e32 v6, v15
.LBB5_155:                              ;   in Loop: Header=BB5_148 Depth=1
	s_or_b64 exec, exec, s[16:17]
	s_and_b64 exec, exec, s[18:19]
	s_cbranch_execz .LBB5_147
; %bb.156:                              ;   in Loop: Header=BB5_148 Depth=1
	v_add_u32_e32 v8, v5, v6
	s_mov_b64 s[16:17], 0
	s_branch .LBB5_158
.LBB5_157:                              ;   in Loop: Header=BB5_158 Depth=2
	v_add_u32_e32 v1, 1, v1
	v_ashrrev_i32_e32 v7, 31, v6
	v_cmp_le_i32_e32 vcc, s23, v1
	v_lshl_add_u64 v[6:7], v[6:7], 2, s[28:29]
	s_or_b64 s[16:17], vcc, s[16:17]
	v_add_u32_e32 v8, 0x104, v8
	s_waitcnt lgkmcnt(0)
	global_store_dword v[6:7], v9, off
	s_andn2_b64 exec, exec, s[16:17]
	s_cbranch_execz .LBB5_147
.LBB5_158:                              ;   Parent Loop BB5_148 Depth=1
                                        ; =>  This Inner Loop Header: Depth=2
	ds_read_b32 v9, v8
	s_mov_b64 s[18:19], -1
	s_and_b64 vcc, exec, s[10:11]
                                        ; implicit-def: $vgpr6
	s_cbranch_vccz .LBB5_160
; %bb.159:                              ;   in Loop: Header=BB5_158 Depth=2
	v_add_u32_e32 v6, s24, v1
	v_mad_u64_u32 v[6:7], s[18:19], v6, s23, v[4:5]
	s_mov_b64 s[18:19], 0
.LBB5_160:                              ;   in Loop: Header=BB5_158 Depth=2
	s_andn2_b64 vcc, exec, s[18:19]
	s_cbranch_vccnz .LBB5_157
; %bb.161:                              ;   in Loop: Header=BB5_158 Depth=2
	v_add_u32_e32 v6, v14, v1
	s_branch .LBB5_157
.LBB5_162:
	s_or_b64 exec, exec, s[8:9]
.LBB5_163:
	s_add_i32 s36, s46, 1
	s_cmp_ge_i32 s36, s33
	s_cbranch_scc1 .LBB5_212
; %bb.164:
	v_bfe_u32 v2, v0, 10, 10
	v_sub_u32_e32 v1, s23, v2
	v_and_b32_e32 v10, 0x3ff, v0
	v_and_b32_e32 v11, -2, v1
	s_mul_i32 s12, s23, s36
	s_cmp_lg_u32 s48, 0
	s_mul_i32 s37, s46, s23
	v_cmp_lt_u32_e64 s[6:7], 1, v1
	v_cmp_ne_u32_e64 s[8:9], v1, v11
	v_add_u32_e32 v1, s12, v10
	s_cselect_b64 s[16:17], -1, 0
	s_cmp_eq_u32 s48, 0
	v_mul_lo_u32 v16, s23, v1
	v_add_u32_e32 v1, s37, v2
	s_cselect_b64 s[4:5], -1, 0
	s_cmp_gt_i32 s23, 0
	v_mul_lo_u32 v1, s23, v1
	s_cselect_b64 s[10:11], -1, 0
	v_add_u32_e32 v17, s23, v1
	v_mul_u32_u24_e32 v1, 0x104, v10
	v_lshlrev_b32_e32 v4, 2, v2
	v_add3_u32 v18, v1, v4, 4
	v_cndmask_b32_e64 v1, 0, 1, s[10:11]
	v_add_u32_e32 v12, v2, v11
	s_movk_i32 s46, 0x104
	v_lshlrev_b32_e32 v14, 2, v10
	v_cmp_ne_u32_e64 s[10:11], 1, v1
	v_cndmask_b32_e64 v1, 0, 1, s[16:17]
	v_cmp_gt_i32_e64 s[0:1], s23, v10
	v_cmp_gt_i32_e64 s[2:3], s23, v2
	v_add_u32_e32 v3, 1, v2
	s_mov_b32 s39, s23
	v_mul_u32_u24_e32 v13, 0x104, v2
	v_mad_u32_u24 v15, v2, s46, v14
	s_mul_i32 s47, s23, s23
	s_lshl_b32 s48, s23, 6
	s_add_i32 s49, s23, 1
	v_mul_lo_u32 v19, v12, s46
	v_cmp_ne_u32_e64 s[12:13], 1, v1
.LBB5_165:                              ; =>This Loop Header: Depth=1
                                        ;     Child Loop BB5_168 Depth 2
                                        ;       Child Loop BB5_171 Depth 3
                                        ;       Child Loop BB5_178 Depth 3
                                        ;     Child Loop BB5_185 Depth 2
                                        ;       Child Loop BB5_188 Depth 3
                                        ;         Child Loop BB5_191 Depth 4
                                        ;     Child Loop BB5_196 Depth 2
                                        ;       Child Loop BB5_199 Depth 3
                                        ;       Child Loop BB5_206 Depth 3
	s_mul_i32 s50, s36, s23
	s_and_saveexec_b64 s[14:15], s[0:1]
	s_cbranch_execz .LBB5_182
; %bb.166:                              ;   in Loop: Header=BB5_165 Depth=1
	s_mov_b32 s51, s50
	s_mov_b64 s[18:19], 0
	v_mov_b32_e32 v5, v14
	v_mov_b32_e32 v20, v16
	;; [unrolled: 1-line block ×4, first 2 shown]
	s_branch .LBB5_168
.LBB5_167:                              ;   in Loop: Header=BB5_168 Depth=2
	s_or_b64 exec, exec, s[20:21]
	v_add_u32_e32 v4, 64, v4
	v_cmp_le_i32_e32 vcc, s23, v4
	v_add_u32_e32 v21, 0x100, v21
	v_add_u32_e32 v20, s48, v20
	s_or_b64 s[18:19], vcc, s[18:19]
	v_add_u32_e32 v5, 0x100, v5
	s_andn2_b64 exec, exec, s[18:19]
	s_cbranch_execz .LBB5_182
.LBB5_168:                              ;   Parent Loop BB5_165 Depth=1
                                        ; =>  This Loop Header: Depth=2
                                        ;       Child Loop BB5_171 Depth 3
                                        ;       Child Loop BB5_178 Depth 3
	s_and_saveexec_b64 s[20:21], s[2:3]
	s_cbranch_execz .LBB5_167
; %bb.169:                              ;   in Loop: Header=BB5_168 Depth=2
	s_mov_b64 s[26:27], -1
	v_mov_b32_e32 v1, v2
	v_mov_b32_e32 v6, v13
	s_and_saveexec_b64 s[24:25], s[6:7]
	s_cbranch_execz .LBB5_175
; %bb.170:                              ;   in Loop: Header=BB5_168 Depth=2
	v_add_u32_e32 v1, s50, v4
	v_mul_lo_u32 v6, v1, s23
	v_mov_b32_e32 v1, v6
	s_mov_b64 s[26:27], 0
	v_mov_b32_e32 v7, v21
	v_mov_b32_e32 v22, v11
	v_mov_b64_e32 v[8:9], v[2:3]
.LBB5_171:                              ;   Parent Loop BB5_165 Depth=1
                                        ;     Parent Loop BB5_168 Depth=2
                                        ; =>    This Inner Loop Header: Depth=3
	v_add_u32_e32 v23, s50, v8
	v_add_u32_e32 v24, s51, v9
	;; [unrolled: 1-line block ×3, first 2 shown]
	v_mad_u64_u32 v[26:27], s[30:31], v23, s23, v[4:5]
	v_add_u32_e32 v28, v9, v1
	v_mad_u64_u32 v[24:25], s[30:31], v24, s39, v[4:5]
	v_cndmask_b32_e64 v26, v26, v29, s[4:5]
	v_cndmask_b32_e64 v24, v24, v28, s[4:5]
	v_ashrrev_i32_e32 v27, 31, v26
	v_ashrrev_i32_e32 v25, 31, v24
	v_lshl_add_u64 v[26:27], v[26:27], 2, s[28:29]
	v_lshl_add_u64 v[24:25], v[24:25], 2, s[28:29]
	global_load_dword v23, v[26:27], off
	global_load_dword v28, v[24:25], off
	v_add_u32_e32 v22, -2, v22
	v_cmp_eq_u32_e32 vcc, 0, v22
	v_add_u32_e32 v9, 2, v9
	v_add_u32_e32 v8, 2, v8
	s_or_b64 s[26:27], vcc, s[26:27]
	s_waitcnt vmcnt(0)
	ds_write2_b32 v7, v23, v28 offset1:65
	v_add_u32_e32 v7, 0x208, v7
	s_andn2_b64 exec, exec, s[26:27]
	s_cbranch_execnz .LBB5_171
; %bb.172:                              ;   in Loop: Header=BB5_168 Depth=2
	s_or_b64 exec, exec, s[26:27]
	s_mov_b64 s[26:27], 0
	s_and_saveexec_b64 s[30:31], s[8:9]
; %bb.173:                              ;   in Loop: Header=BB5_168 Depth=2
	s_mov_b64 s[26:27], exec
; %bb.174:                              ;   in Loop: Header=BB5_168 Depth=2
	s_or_b64 exec, exec, s[30:31]
	s_orn2_b64 s[26:27], s[26:27], exec
	v_mov_b32_e32 v1, v12
	v_mov_b32_e32 v6, v19
.LBB5_175:                              ;   in Loop: Header=BB5_168 Depth=2
	s_or_b64 exec, exec, s[24:25]
	s_and_b64 exec, exec, s[26:27]
	s_cbranch_execz .LBB5_167
; %bb.176:                              ;   in Loop: Header=BB5_168 Depth=2
	v_add_u32_e32 v8, v5, v6
	s_mov_b64 s[24:25], 0
	s_branch .LBB5_178
.LBB5_177:                              ;   in Loop: Header=BB5_178 Depth=3
	v_ashrrev_i32_e32 v7, 31, v6
	v_lshl_add_u64 v[6:7], v[6:7], 2, s[28:29]
	global_load_dword v6, v[6:7], off
	v_add_u32_e32 v1, 1, v1
	v_cmp_le_i32_e32 vcc, s23, v1
	s_or_b64 s[24:25], vcc, s[24:25]
	s_waitcnt vmcnt(0)
	ds_write_b32 v8, v6
	v_add_u32_e32 v8, 0x104, v8
	s_andn2_b64 exec, exec, s[24:25]
	s_cbranch_execz .LBB5_167
.LBB5_178:                              ;   Parent Loop BB5_165 Depth=1
                                        ;     Parent Loop BB5_168 Depth=2
                                        ; =>    This Inner Loop Header: Depth=3
	s_mov_b64 s[26:27], -1
	s_and_b64 vcc, exec, s[16:17]
                                        ; implicit-def: $vgpr6
	s_cbranch_vccz .LBB5_180
; %bb.179:                              ;   in Loop: Header=BB5_178 Depth=3
	v_add_u32_e32 v6, s50, v1
	v_mad_u64_u32 v[6:7], s[26:27], v6, s23, v[4:5]
	s_mov_b64 s[26:27], 0
.LBB5_180:                              ;   in Loop: Header=BB5_178 Depth=3
	s_andn2_b64 vcc, exec, s[26:27]
	s_cbranch_vccnz .LBB5_177
; %bb.181:                              ;   in Loop: Header=BB5_178 Depth=3
	v_add_u32_e32 v6, v20, v1
	s_branch .LBB5_177
.LBB5_182:                              ;   in Loop: Header=BB5_165 Depth=1
	s_or_b64 exec, exec, s[14:15]
	s_and_b64 vcc, exec, s[10:11]
	s_waitcnt lgkmcnt(0)
	s_cbranch_vccnz .LBB5_193
; %bb.183:                              ;   in Loop: Header=BB5_165 Depth=1
	s_mov_b32 s30, 0
	v_mov_b32_e32 v1, v18
	v_mov_b32_e32 v6, v17
	s_branch .LBB5_185
.LBB5_184:                              ;   in Loop: Header=BB5_185 Depth=2
	s_or_b64 exec, exec, s[18:19]
	s_add_i32 s30, s30, 1
	v_add_u32_e32 v6, s49, v6
	s_cmp_eq_u32 s30, s23
	v_add_u32_e32 v1, 4, v1
	s_cbranch_scc1 .LBB5_193
.LBB5_185:                              ;   Parent Loop BB5_165 Depth=1
                                        ; =>  This Loop Header: Depth=2
                                        ;       Child Loop BB5_188 Depth 3
                                        ;         Child Loop BB5_191 Depth 4
	s_and_saveexec_b64 s[18:19], s[0:1]
	s_cbranch_execz .LBB5_184
; %bb.186:                              ;   in Loop: Header=BB5_185 Depth=2
	v_add_u32_e32 v7, s30, v3
	s_add_i32 s31, s30, s37
	v_cmp_gt_i32_e64 s[14:15], s23, v7
	s_mul_i32 s31, s31, s23
	s_mov_b64 s[20:21], 0
	v_mov_b32_e32 v8, v1
	v_mov_b32_e32 v9, v10
	s_branch .LBB5_188
.LBB5_187:                              ;   in Loop: Header=BB5_188 Depth=3
	s_or_b64 exec, exec, s[24:25]
	v_add_u32_e32 v9, 64, v9
	v_cmp_le_i32_e32 vcc, s23, v9
	s_or_b64 s[20:21], vcc, s[20:21]
	v_add_u32_e32 v8, 0x4100, v8
	s_andn2_b64 exec, exec, s[20:21]
	s_cbranch_execz .LBB5_184
.LBB5_188:                              ;   Parent Loop BB5_165 Depth=1
                                        ;     Parent Loop BB5_185 Depth=2
                                        ; =>    This Loop Header: Depth=3
                                        ;         Child Loop BB5_191 Depth 4
	s_and_saveexec_b64 s[24:25], s[14:15]
	s_cbranch_execz .LBB5_187
; %bb.189:                              ;   in Loop: Header=BB5_188 Depth=3
	v_mul_lo_u32 v4, v9, s46
	v_lshl_add_u32 v20, s30, 2, v4
	s_mov_b64 s[26:27], 0
	v_mov_b32_e32 v21, v8
	v_mov_b32_e32 v22, v6
	;; [unrolled: 1-line block ×3, first 2 shown]
	s_branch .LBB5_191
.LBB5_190:                              ;   in Loop: Header=BB5_191 Depth=4
	v_ashrrev_i32_e32 v5, 31, v4
	v_lshl_add_u64 v[4:5], v[4:5], 2, s[28:29]
	global_load_dword v4, v[4:5], off
	ds_read_b32 v5, v20
	ds_read_b32 v24, v21
	v_add_u32_e32 v23, 1, v23
	v_cmp_le_i32_e32 vcc, s23, v23
	v_add_u32_e32 v22, s23, v22
	s_or_b64 s[26:27], vcc, s[26:27]
	s_waitcnt vmcnt(0) lgkmcnt(0)
	v_fma_f32 v4, -v4, v5, v24
	ds_write_b32 v21, v4
	v_add_u32_e32 v21, 4, v21
	s_andn2_b64 exec, exec, s[26:27]
	s_cbranch_execz .LBB5_187
.LBB5_191:                              ;   Parent Loop BB5_165 Depth=1
                                        ;     Parent Loop BB5_185 Depth=2
                                        ;       Parent Loop BB5_188 Depth=3
                                        ; =>      This Inner Loop Header: Depth=4
	s_and_b64 vcc, exec, s[12:13]
	v_mov_b32_e32 v4, v22
	s_cbranch_vccnz .LBB5_190
; %bb.192:                              ;   in Loop: Header=BB5_191 Depth=4
	v_add_u32_e32 v4, s31, v23
	s_branch .LBB5_190
.LBB5_193:                              ;   in Loop: Header=BB5_165 Depth=1
	s_waitcnt lgkmcnt(0)
	s_and_saveexec_b64 s[14:15], s[0:1]
	s_cbranch_execz .LBB5_210
; %bb.194:                              ;   in Loop: Header=BB5_165 Depth=1
	s_mov_b32 s51, s50
	s_mov_b64 s[18:19], 0
	v_mov_b32_e32 v5, v14
	v_mov_b32_e32 v20, v16
	v_mov_b32_e32 v21, v15
	v_mov_b32_e32 v4, v10
	s_branch .LBB5_196
.LBB5_195:                              ;   in Loop: Header=BB5_196 Depth=2
	s_or_b64 exec, exec, s[20:21]
	v_add_u32_e32 v4, 64, v4
	v_cmp_le_i32_e32 vcc, s23, v4
	v_add_u32_e32 v21, 0x100, v21
	v_add_u32_e32 v20, s48, v20
	s_or_b64 s[18:19], vcc, s[18:19]
	v_add_u32_e32 v5, 0x100, v5
	s_andn2_b64 exec, exec, s[18:19]
	s_cbranch_execz .LBB5_210
.LBB5_196:                              ;   Parent Loop BB5_165 Depth=1
                                        ; =>  This Loop Header: Depth=2
                                        ;       Child Loop BB5_199 Depth 3
                                        ;       Child Loop BB5_206 Depth 3
	s_and_saveexec_b64 s[20:21], s[2:3]
	s_cbranch_execz .LBB5_195
; %bb.197:                              ;   in Loop: Header=BB5_196 Depth=2
	s_mov_b64 s[26:27], -1
	v_mov_b32_e32 v1, v2
	v_mov_b32_e32 v6, v13
	s_and_saveexec_b64 s[24:25], s[6:7]
	s_cbranch_execz .LBB5_203
; %bb.198:                              ;   in Loop: Header=BB5_196 Depth=2
	v_add_u32_e32 v1, s50, v4
	v_mul_lo_u32 v6, v1, s23
	v_mov_b32_e32 v1, v6
	s_mov_b64 s[26:27], 0
	v_mov_b32_e32 v7, v21
	v_mov_b32_e32 v22, v11
	v_mov_b64_e32 v[8:9], v[2:3]
.LBB5_199:                              ;   Parent Loop BB5_165 Depth=1
                                        ;     Parent Loop BB5_196 Depth=2
                                        ; =>    This Inner Loop Header: Depth=3
	ds_read2_b32 v[24:25], v7 offset1:65
	v_add_u32_e32 v23, s50, v8
	v_add_u32_e32 v26, s51, v9
	;; [unrolled: 1-line block ×3, first 2 shown]
	v_mad_u64_u32 v[28:29], s[30:31], v23, s23, v[4:5]
	v_add_u32_e32 v30, v9, v1
	v_add_u32_e32 v22, -2, v22
	v_mad_u64_u32 v[26:27], s[30:31], v26, s39, v[4:5]
	v_cndmask_b32_e64 v28, v28, v31, s[4:5]
	v_cmp_eq_u32_e32 vcc, 0, v22
	v_cndmask_b32_e64 v26, v26, v30, s[4:5]
	v_ashrrev_i32_e32 v29, 31, v28
	v_add_u32_e32 v9, 2, v9
	v_add_u32_e32 v8, 2, v8
	;; [unrolled: 1-line block ×3, first 2 shown]
	s_or_b64 s[26:27], vcc, s[26:27]
	v_ashrrev_i32_e32 v27, 31, v26
	v_lshl_add_u64 v[28:29], v[28:29], 2, s[28:29]
	v_lshl_add_u64 v[26:27], v[26:27], 2, s[28:29]
	s_waitcnt lgkmcnt(0)
	global_store_dword v[28:29], v24, off
	global_store_dword v[26:27], v25, off
	s_andn2_b64 exec, exec, s[26:27]
	s_cbranch_execnz .LBB5_199
; %bb.200:                              ;   in Loop: Header=BB5_196 Depth=2
	s_or_b64 exec, exec, s[26:27]
	s_mov_b64 s[26:27], 0
	s_and_saveexec_b64 s[30:31], s[8:9]
; %bb.201:                              ;   in Loop: Header=BB5_196 Depth=2
	s_mov_b64 s[26:27], exec
; %bb.202:                              ;   in Loop: Header=BB5_196 Depth=2
	s_or_b64 exec, exec, s[30:31]
	s_orn2_b64 s[26:27], s[26:27], exec
	v_mov_b32_e32 v1, v12
	v_mov_b32_e32 v6, v19
.LBB5_203:                              ;   in Loop: Header=BB5_196 Depth=2
	s_or_b64 exec, exec, s[24:25]
	s_and_b64 exec, exec, s[26:27]
	s_cbranch_execz .LBB5_195
; %bb.204:                              ;   in Loop: Header=BB5_196 Depth=2
	v_add_u32_e32 v8, v5, v6
	s_mov_b64 s[24:25], 0
	s_branch .LBB5_206
.LBB5_205:                              ;   in Loop: Header=BB5_206 Depth=3
	v_add_u32_e32 v1, 1, v1
	v_ashrrev_i32_e32 v7, 31, v6
	v_cmp_le_i32_e32 vcc, s23, v1
	v_lshl_add_u64 v[6:7], v[6:7], 2, s[28:29]
	s_or_b64 s[24:25], vcc, s[24:25]
	v_add_u32_e32 v8, 0x104, v8
	s_waitcnt lgkmcnt(0)
	global_store_dword v[6:7], v9, off
	s_andn2_b64 exec, exec, s[24:25]
	s_cbranch_execz .LBB5_195
.LBB5_206:                              ;   Parent Loop BB5_165 Depth=1
                                        ;     Parent Loop BB5_196 Depth=2
                                        ; =>    This Inner Loop Header: Depth=3
	ds_read_b32 v9, v8
	s_mov_b64 s[26:27], -1
	s_and_b64 vcc, exec, s[16:17]
                                        ; implicit-def: $vgpr6
	s_cbranch_vccz .LBB5_208
; %bb.207:                              ;   in Loop: Header=BB5_206 Depth=3
	v_add_u32_e32 v6, s50, v1
	v_mad_u64_u32 v[6:7], s[26:27], v6, s23, v[4:5]
	s_mov_b64 s[26:27], 0
.LBB5_208:                              ;   in Loop: Header=BB5_206 Depth=3
	s_andn2_b64 vcc, exec, s[26:27]
	s_cbranch_vccnz .LBB5_205
; %bb.209:                              ;   in Loop: Header=BB5_206 Depth=3
	v_add_u32_e32 v6, v20, v1
	s_branch .LBB5_205
.LBB5_210:                              ;   in Loop: Header=BB5_165 Depth=1
	s_or_b64 exec, exec, s[14:15]
; %bb.211:                              ;   in Loop: Header=BB5_165 Depth=1
	s_add_i32 s36, s36, 1
	s_cmp_ge_i32 s36, s33
	v_add_u32_e32 v16, s47, v16
	s_cbranch_scc0 .LBB5_165
.LBB5_212:
	v_and_b32_e32 v0, 0xfffff, v0
	v_cmp_eq_u32_e32 vcc, 0, v0
	s_and_saveexec_b64 s[0:1], vcc
	s_cbranch_execz .LBB5_216
; %bb.213:
	s_add_u32 s0, s40, s42
	s_addc_u32 s1, s41, s43
	v_mov_b32_e32 v0, 0
	v_mov_b32_e32 v1, 1
	s_andn2_b64 vcc, exec, s[44:45]
	buffer_wbl2 sc1
	s_waitcnt vmcnt(0)
	global_store_dword v0, v1, s[0:1] sc1
	s_cbranch_vccnz .LBB5_216
; %bb.214:
	v_mbcnt_lo_u32_b32 v0, exec_lo, 0
	v_mbcnt_hi_u32_b32 v0, exec_hi, v0
	v_cmp_eq_u32_e32 vcc, 0, v0
	s_and_b64 exec, exec, vcc
	s_cbranch_execz .LBB5_216
; %bb.215:
	s_add_i32 s0, s38, s22
	v_mov_b32_e32 v0, 0
	v_mov_b32_e32 v1, s0
	global_atomic_smin v0, v1, s[34:35]
.LBB5_216:
	s_endpgm
	.section	.rodata,"a",@progbits
	.p2align	6, 0x0
	.amdhsa_kernel _ZN9rocsparseL13bsrilu0_33_64ILj64ELj64ELj64EfEEv20rocsparse_direction_iPKiS3_PT2_S3_iPiS3_S6_21rocsparse_index_base_imNS_24const_host_device_scalarIfEENS8_IdEENS8_IS4_EEb
		.amdhsa_group_segment_fixed_size 16640
		.amdhsa_private_segment_fixed_size 0
		.amdhsa_kernarg_size 116
		.amdhsa_user_sgpr_count 2
		.amdhsa_user_sgpr_dispatch_ptr 0
		.amdhsa_user_sgpr_queue_ptr 0
		.amdhsa_user_sgpr_kernarg_segment_ptr 1
		.amdhsa_user_sgpr_dispatch_id 0
		.amdhsa_user_sgpr_kernarg_preload_length 0
		.amdhsa_user_sgpr_kernarg_preload_offset 0
		.amdhsa_user_sgpr_private_segment_size 0
		.amdhsa_uses_dynamic_stack 0
		.amdhsa_enable_private_segment 0
		.amdhsa_system_sgpr_workgroup_id_x 1
		.amdhsa_system_sgpr_workgroup_id_y 0
		.amdhsa_system_sgpr_workgroup_id_z 0
		.amdhsa_system_sgpr_workgroup_info 0
		.amdhsa_system_vgpr_workitem_id 1
		.amdhsa_next_free_vgpr 129
		.amdhsa_next_free_sgpr 96
		.amdhsa_accum_offset 44
		.amdhsa_reserve_vcc 1
		.amdhsa_float_round_mode_32 0
		.amdhsa_float_round_mode_16_64 0
		.amdhsa_float_denorm_mode_32 3
		.amdhsa_float_denorm_mode_16_64 3
		.amdhsa_dx10_clamp 1
		.amdhsa_ieee_mode 1
		.amdhsa_fp16_overflow 0
		.amdhsa_tg_split 0
		.amdhsa_exception_fp_ieee_invalid_op 0
		.amdhsa_exception_fp_denorm_src 0
		.amdhsa_exception_fp_ieee_div_zero 0
		.amdhsa_exception_fp_ieee_overflow 0
		.amdhsa_exception_fp_ieee_underflow 0
		.amdhsa_exception_fp_ieee_inexact 0
		.amdhsa_exception_int_div_zero 0
	.end_amdhsa_kernel
	.section	.text._ZN9rocsparseL13bsrilu0_33_64ILj64ELj64ELj64EfEEv20rocsparse_direction_iPKiS3_PT2_S3_iPiS3_S6_21rocsparse_index_base_imNS_24const_host_device_scalarIfEENS8_IdEENS8_IS4_EEb,"axG",@progbits,_ZN9rocsparseL13bsrilu0_33_64ILj64ELj64ELj64EfEEv20rocsparse_direction_iPKiS3_PT2_S3_iPiS3_S6_21rocsparse_index_base_imNS_24const_host_device_scalarIfEENS8_IdEENS8_IS4_EEb,comdat
.Lfunc_end5:
	.size	_ZN9rocsparseL13bsrilu0_33_64ILj64ELj64ELj64EfEEv20rocsparse_direction_iPKiS3_PT2_S3_iPiS3_S6_21rocsparse_index_base_imNS_24const_host_device_scalarIfEENS8_IdEENS8_IS4_EEb, .Lfunc_end5-_ZN9rocsparseL13bsrilu0_33_64ILj64ELj64ELj64EfEEv20rocsparse_direction_iPKiS3_PT2_S3_iPiS3_S6_21rocsparse_index_base_imNS_24const_host_device_scalarIfEENS8_IdEENS8_IS4_EEb
                                        ; -- End function
	.set _ZN9rocsparseL13bsrilu0_33_64ILj64ELj64ELj64EfEEv20rocsparse_direction_iPKiS3_PT2_S3_iPiS3_S6_21rocsparse_index_base_imNS_24const_host_device_scalarIfEENS8_IdEENS8_IS4_EEb.num_vgpr, 42
	.set _ZN9rocsparseL13bsrilu0_33_64ILj64ELj64ELj64EfEEv20rocsparse_direction_iPKiS3_PT2_S3_iPiS3_S6_21rocsparse_index_base_imNS_24const_host_device_scalarIfEENS8_IdEENS8_IS4_EEb.num_agpr, 0
	.set _ZN9rocsparseL13bsrilu0_33_64ILj64ELj64ELj64EfEEv20rocsparse_direction_iPKiS3_PT2_S3_iPiS3_S6_21rocsparse_index_base_imNS_24const_host_device_scalarIfEENS8_IdEENS8_IS4_EEb.numbered_sgpr, 74
	.set _ZN9rocsparseL13bsrilu0_33_64ILj64ELj64ELj64EfEEv20rocsparse_direction_iPKiS3_PT2_S3_iPiS3_S6_21rocsparse_index_base_imNS_24const_host_device_scalarIfEENS8_IdEENS8_IS4_EEb.num_named_barrier, 0
	.set _ZN9rocsparseL13bsrilu0_33_64ILj64ELj64ELj64EfEEv20rocsparse_direction_iPKiS3_PT2_S3_iPiS3_S6_21rocsparse_index_base_imNS_24const_host_device_scalarIfEENS8_IdEENS8_IS4_EEb.private_seg_size, 0
	.set _ZN9rocsparseL13bsrilu0_33_64ILj64ELj64ELj64EfEEv20rocsparse_direction_iPKiS3_PT2_S3_iPiS3_S6_21rocsparse_index_base_imNS_24const_host_device_scalarIfEENS8_IdEENS8_IS4_EEb.uses_vcc, 1
	.set _ZN9rocsparseL13bsrilu0_33_64ILj64ELj64ELj64EfEEv20rocsparse_direction_iPKiS3_PT2_S3_iPiS3_S6_21rocsparse_index_base_imNS_24const_host_device_scalarIfEENS8_IdEENS8_IS4_EEb.uses_flat_scratch, 0
	.set _ZN9rocsparseL13bsrilu0_33_64ILj64ELj64ELj64EfEEv20rocsparse_direction_iPKiS3_PT2_S3_iPiS3_S6_21rocsparse_index_base_imNS_24const_host_device_scalarIfEENS8_IdEENS8_IS4_EEb.has_dyn_sized_stack, 0
	.set _ZN9rocsparseL13bsrilu0_33_64ILj64ELj64ELj64EfEEv20rocsparse_direction_iPKiS3_PT2_S3_iPiS3_S6_21rocsparse_index_base_imNS_24const_host_device_scalarIfEENS8_IdEENS8_IS4_EEb.has_recursion, 0
	.set _ZN9rocsparseL13bsrilu0_33_64ILj64ELj64ELj64EfEEv20rocsparse_direction_iPKiS3_PT2_S3_iPiS3_S6_21rocsparse_index_base_imNS_24const_host_device_scalarIfEENS8_IdEENS8_IS4_EEb.has_indirect_call, 0
	.section	.AMDGPU.csdata,"",@progbits
; Kernel info:
; codeLenInByte = 6184
; TotalNumSgprs: 80
; NumVgprs: 42
; NumAgprs: 0
; TotalNumVgprs: 42
; ScratchSize: 0
; MemoryBound: 0
; FloatMode: 240
; IeeeMode: 1
; LDSByteSize: 16640 bytes/workgroup (compile time only)
; SGPRBlocks: 12
; VGPRBlocks: 16
; NumSGPRsForWavesPerEU: 102
; NumVGPRsForWavesPerEU: 129
; AccumOffset: 44
; Occupancy: 3
; WaveLimiterHint : 1
; COMPUTE_PGM_RSRC2:SCRATCH_EN: 0
; COMPUTE_PGM_RSRC2:USER_SGPR: 2
; COMPUTE_PGM_RSRC2:TRAP_HANDLER: 0
; COMPUTE_PGM_RSRC2:TGID_X_EN: 1
; COMPUTE_PGM_RSRC2:TGID_Y_EN: 0
; COMPUTE_PGM_RSRC2:TGID_Z_EN: 0
; COMPUTE_PGM_RSRC2:TIDIG_COMP_CNT: 1
; COMPUTE_PGM_RSRC3_GFX90A:ACCUM_OFFSET: 10
; COMPUTE_PGM_RSRC3_GFX90A:TG_SPLIT: 0
	.section	.text._ZN9rocsparseL15bsrilu0_generalILj128ELj64ELb0EfEEv20rocsparse_direction_iPKiS3_PT2_S3_iPiS3_S6_21rocsparse_index_base_imNS_24const_host_device_scalarIfEENS8_IdEENS8_IS4_EEb,"axG",@progbits,_ZN9rocsparseL15bsrilu0_generalILj128ELj64ELb0EfEEv20rocsparse_direction_iPKiS3_PT2_S3_iPiS3_S6_21rocsparse_index_base_imNS_24const_host_device_scalarIfEENS8_IdEENS8_IS4_EEb,comdat
	.globl	_ZN9rocsparseL15bsrilu0_generalILj128ELj64ELb0EfEEv20rocsparse_direction_iPKiS3_PT2_S3_iPiS3_S6_21rocsparse_index_base_imNS_24const_host_device_scalarIfEENS8_IdEENS8_IS4_EEb ; -- Begin function _ZN9rocsparseL15bsrilu0_generalILj128ELj64ELb0EfEEv20rocsparse_direction_iPKiS3_PT2_S3_iPiS3_S6_21rocsparse_index_base_imNS_24const_host_device_scalarIfEENS8_IdEENS8_IS4_EEb
	.p2align	8
	.type	_ZN9rocsparseL15bsrilu0_generalILj128ELj64ELb0EfEEv20rocsparse_direction_iPKiS3_PT2_S3_iPiS3_S6_21rocsparse_index_base_imNS_24const_host_device_scalarIfEENS8_IdEENS8_IS4_EEb,@function
_ZN9rocsparseL15bsrilu0_generalILj128ELj64ELb0EfEEv20rocsparse_direction_iPKiS3_PT2_S3_iPiS3_S6_21rocsparse_index_base_imNS_24const_host_device_scalarIfEENS8_IdEENS8_IS4_EEb: ; @_ZN9rocsparseL15bsrilu0_generalILj128ELj64ELb0EfEEv20rocsparse_direction_iPKiS3_PT2_S3_iPiS3_S6_21rocsparse_index_base_imNS_24const_host_device_scalarIfEENS8_IdEENS8_IS4_EEb
; %bb.0:
	s_load_dword s3, s[0:1], 0x70
	s_load_dwordx2 s[14:15], s[0:1], 0x48
	s_load_dwordx8 s[24:31], s[0:1], 0x50
	s_waitcnt lgkmcnt(0)
	s_bitcmp1_b32 s3, 0
	s_cselect_b64 s[4:5], -1, 0
	s_cmp_eq_u32 s15, 0
	s_cselect_b64 s[6:7], -1, 0
	s_cmp_lg_u32 s15, 0
	s_cselect_b64 s[36:37], -1, 0
	s_or_b64 s[4:5], s[6:7], s[4:5]
	s_xor_b64 s[8:9], s[4:5], -1
	s_and_b64 s[10:11], s[6:7], exec
	s_cselect_b32 s11, 0, s29
	s_cselect_b32 s10, 0, s28
	s_and_b64 vcc, exec, s[4:5]
	s_cbranch_vccnz .LBB6_2
; %bb.1:
	s_load_dword s3, s[26:27], 0x0
	s_mov_b64 s[10:11], s[28:29]
	s_waitcnt lgkmcnt(0)
	v_mov_b32_e32 v25, s3
	s_branch .LBB6_3
.LBB6_2:
	v_mov_b32_e32 v1, s26
	v_cndmask_b32_e64 v25, v1, 0, s[6:7]
.LBB6_3:
	v_cndmask_b32_e64 v1, 0, 1, s[8:9]
	v_cmp_ne_u32_e64 s[4:5], 1, v1
	s_andn2_b64 vcc, exec, s[8:9]
	v_mov_b64_e32 v[6:7], s[10:11]
	s_cbranch_vccnz .LBB6_5
; %bb.4:
	v_mov_b64_e32 v[2:3], s[28:29]
	flat_load_dwordx2 v[6:7], v[2:3]
.LBB6_5:
	s_and_b64 vcc, exec, s[4:5]
	s_cbranch_vccnz .LBB6_7
; %bb.6:
	s_load_dword s3, s[30:31], 0x0
	s_waitcnt lgkmcnt(0)
	v_mov_b32_e32 v24, s3
	s_branch .LBB6_8
.LBB6_7:
	v_mov_b32_e32 v1, s30
	v_cndmask_b32_e64 v24, v1, 0, s[6:7]
.LBB6_8:
	s_load_dwordx2 s[34:35], s[0:1], 0x0
	s_lshl_b32 s2, s2, 1
	v_lshrrev_b32_e32 v1, 6, v0
	s_and_b32 s2, s2, 0x3fffffe
	v_or_b32_e32 v1, s2, v1
	s_waitcnt lgkmcnt(0)
	v_cmp_gt_i32_e32 vcc, s35, v1
	s_and_saveexec_b64 s[2:3], vcc
	s_cbranch_execz .LBB6_141
; %bb.9:
	s_load_dwordx4 s[28:31], s[0:1], 0x30
	s_load_dwordx2 s[26:27], s[0:1], 0x40
	v_lshlrev_b32_e32 v1, 2, v1
	s_load_dwordx8 s[16:23], s[0:1], 0x8
	v_and_b32_e32 v0, 63, v0
	s_waitcnt lgkmcnt(0)
	global_load_dword v2, v1, s[30:31]
	s_mov_b64 s[2:3], -1
	s_waitcnt vmcnt(0)
	v_ashrrev_i32_e32 v3, 31, v2
	v_lshl_add_u64 v[4:5], v[2:3], 2, s[22:23]
	global_load_dword v4, v[4:5], off
	s_waitcnt vmcnt(0)
	v_cmp_ne_u32_e32 vcc, -1, v4
	s_and_saveexec_b64 s[30:31], vcc
	s_cbranch_execz .LBB6_135
; %bb.10:
	v_lshl_add_u64 v[8:9], v[2:3], 2, s[16:17]
	global_load_dwordx2 v[8:9], v[8:9], off
	s_load_dword s15, s[0:1], 0x28
	s_mov_b64 s[8:9], 0
	s_waitcnt vmcnt(0)
	v_subrev_u32_e32 v8, s14, v8
	v_subrev_u32_e32 v1, s14, v9
	v_cmp_lt_i32_e32 vcc, v8, v4
	s_and_saveexec_b64 s[38:39], vcc
	s_cbranch_execz .LBB6_76
; %bb.11:
	s_waitcnt lgkmcnt(0)
	s_cmp_gt_i32 s15, 0
	s_cselect_b64 s[6:7], -1, 0
	v_add_u32_e32 v10, v8, v0
	v_mad_u64_u32 v[14:15], s[8:9], s15, v8, v[0:1]
	v_cndmask_b32_e64 v9, 0, 1, s[6:7]
	s_cmp_lg_u32 s34, 0
	v_ashrrev_i32_e32 v11, 31, v10
	v_mul_lo_u32 v5, s15, v14
	v_cmp_ne_u32_e64 s[6:7], 1, v9
	v_mbcnt_lo_u32_b32 v9, -1, 0
	s_cselect_b64 s[40:41], -1, 0
	v_cmp_gt_i32_e64 s[0:1], s15, v0
	v_cmp_le_i32_e64 s[2:3], s15, v0
	v_cmp_lt_i32_e64 s[4:5], v10, v1
	s_add_i32 s33, s35, 1
	v_lshl_add_u64 v[12:13], v[10:11], 2, s[18:19]
	s_mul_i32 s35, s15, s15
	s_add_i32 s60, s15, 1
	v_add_u32_e32 v11, 1, v5
	s_lshl_b32 s61, s15, 6
	s_add_i32 s62, s15, -1
	s_mov_b64 s[48:49], 0
	s_mov_b64 s[42:43], 0
	v_mbcnt_hi_u32_b32 v26, -1, v9
                                        ; implicit-def: $sgpr44_sgpr45
                                        ; implicit-def: $sgpr46_sgpr47
	s_branch .LBB6_14
.LBB6_12:                               ;   in Loop: Header=BB6_14 Depth=1
	s_or_b64 exec, exec, s[10:11]
	s_andn2_b64 s[10:11], s[46:47], exec
	s_and_b64 s[12:13], s[48:49], exec
	s_or_b64 s[46:47], s[10:11], s[12:13]
.LBB6_13:                               ;   in Loop: Header=BB6_14 Depth=1
	s_or_b64 exec, exec, s[50:51]
	v_add_u32_e32 v8, 1, v8
	v_cmp_ge_i32_e32 vcc, v8, v4
	s_xor_b64 s[8:9], s[8:9], -1
	s_or_b64 s[8:9], s[8:9], vcc
	s_and_b64 s[8:9], exec, s[8:9]
	s_or_b64 s[42:43], s[8:9], s[42:43]
	s_andn2_b64 s[8:9], s[44:45], exec
	s_and_b64 s[10:11], s[46:47], exec
	v_add_u32_e32 v11, s35, v11
	v_add_u32_e32 v5, s35, v5
	s_or_b64 s[44:45], s[8:9], s[10:11]
	s_mov_b64 s[48:49], s[46:47]
	s_andn2_b64 exec, exec, s[42:43]
	s_cbranch_execz .LBB6_75
.LBB6_14:                               ; =>This Loop Header: Depth=1
                                        ;     Child Loop BB6_17 Depth 2
                                        ;     Child Loop BB6_22 Depth 2
                                        ;       Child Loop BB6_27 Depth 3
                                        ;         Child Loop BB6_36 Depth 4
                                        ;     Child Loop BB6_49 Depth 2
                                        ;       Child Loop BB6_54 Depth 3
                                        ;       Child Loop BB6_61 Depth 3
                                        ;         Child Loop BB6_63 Depth 4
                                        ;           Child Loop BB6_65 Depth 5
	v_ashrrev_i32_e32 v9, 31, v8
	v_lshl_add_u64 v[14:15], v[8:9], 2, s[18:19]
	global_load_dword v9, v[14:15], off
	s_or_b64 s[46:47], s[46:47], exec
	s_waitcnt vmcnt(0)
	v_subrev_u32_e32 v14, s14, v9
	v_ashrrev_i32_e32 v15, 31, v14
	s_waitcnt lgkmcnt(0)
	v_lshl_add_u64 v[16:17], v[14:15], 2, s[22:23]
	global_load_dword v17, v[16:17], off
	s_waitcnt vmcnt(0)
	v_cmp_ne_u32_e64 s[8:9], -1, v17
	s_and_saveexec_b64 s[50:51], s[8:9]
	s_cbranch_execz .LBB6_13
; %bb.15:                               ;   in Loop: Header=BB6_14 Depth=1
	v_lshlrev_b64 v[14:15], 2, v[14:15]
	v_lshl_add_u64 v[18:19], s[16:17], 0, v[14:15]
	v_lshl_add_u64 v[14:15], s[28:29], 0, v[14:15]
	global_load_dword v19, v[18:19], off offset:4
	s_nop 0
	global_load_dword v9, v[14:15], off sc1
	s_waitcnt vmcnt(0)
	v_cmp_eq_u32_e32 vcc, 0, v9
	s_and_saveexec_b64 s[10:11], vcc
	s_cbranch_execz .LBB6_18
; %bb.16:                               ;   in Loop: Header=BB6_14 Depth=1
	s_mov_b64 s[12:13], 0
.LBB6_17:                               ;   Parent Loop BB6_14 Depth=1
                                        ; =>  This Inner Loop Header: Depth=2
	global_load_dword v9, v[14:15], off sc1
	s_waitcnt vmcnt(0)
	v_cmp_ne_u32_e32 vcc, 0, v9
	s_or_b64 s[12:13], vcc, s[12:13]
	s_andn2_b64 exec, exec, s[12:13]
	s_cbranch_execnz .LBB6_17
.LBB6_18:                               ;   in Loop: Header=BB6_14 Depth=1
	s_or_b64 exec, exec, s[10:11]
	s_and_b64 vcc, exec, s[6:7]
	v_mul_lo_u32 v9, v8, s15
	buffer_inv sc1
	s_cbranch_vccnz .LBB6_45
; %bb.19:                               ;   in Loop: Header=BB6_14 Depth=1
	v_mad_u64_u32 v[14:15], s[10:11], s35, v17, 1
	v_mul_lo_u32 v27, v17, s15
	v_mov_b32_e32 v16, 0
	s_mov_b64 s[52:53], 0
	s_mov_b32 s63, s62
	v_mov_b32_e32 v15, v11
	s_branch .LBB6_22
.LBB6_20:                               ;   in Loop: Header=BB6_22 Depth=2
	s_or_b64 exec, exec, s[56:57]
	v_mov_b32_e32 v16, v28
.LBB6_21:                               ;   in Loop: Header=BB6_22 Depth=2
	s_or_b64 exec, exec, s[54:55]
	s_add_i32 s63, s63, -1
	v_cmp_eq_u32_e32 vcc, s15, v16
	v_add_u32_e32 v14, s60, v14
	s_or_b64 s[52:53], vcc, s[52:53]
	v_add_u32_e32 v15, 1, v15
	s_andn2_b64 exec, exec, s[52:53]
	s_cbranch_execz .LBB6_44
.LBB6_22:                               ;   Parent Loop BB6_14 Depth=1
                                        ; =>  This Loop Header: Depth=2
                                        ;       Child Loop BB6_27 Depth 3
                                        ;         Child Loop BB6_36 Depth 4
	v_add_u32_e32 v28, 1, v16
	s_and_saveexec_b64 s[10:11], s[2:3]
	s_xor_b64 s[10:11], exec, s[10:11]
; %bb.23:                               ;   in Loop: Header=BB6_22 Depth=2
	v_add_u32_e32 v16, 1, v16
                                        ; implicit-def: $vgpr28
; %bb.24:                               ;   in Loop: Header=BB6_22 Depth=2
	s_andn2_saveexec_b64 s[54:55], s[10:11]
	s_cbranch_execz .LBB6_21
; %bb.25:                               ;   in Loop: Header=BB6_22 Depth=2
	v_add_u32_e32 v18, v16, v27
	v_mad_u64_u32 v[20:21], s[10:11], v18, s15, v[16:17]
	v_ashrrev_i32_e32 v21, 31, v20
	v_lshl_add_u64 v[20:21], v[20:21], 2, s[20:21]
	global_load_dword v29, v[20:21], off
	v_add_u32_e32 v18, v16, v9
	v_mul_lo_u32 v30, v18, s15
	v_cmp_gt_i32_e64 s[10:11], s15, v28
	s_mov_b64 s[56:57], 0
	v_mov_b32_e32 v31, v15
	v_mov_b32_e32 v18, v0
	s_branch .LBB6_27
.LBB6_26:                               ;   in Loop: Header=BB6_27 Depth=3
	s_or_b64 exec, exec, s[58:59]
	v_add_u32_e32 v18, 64, v18
	v_cmp_le_i32_e32 vcc, s15, v18
	s_or_b64 s[56:57], vcc, s[56:57]
	v_add_u32_e32 v31, s61, v31
	s_andn2_b64 exec, exec, s[56:57]
	s_cbranch_execz .LBB6_20
.LBB6_27:                               ;   Parent Loop BB6_14 Depth=1
                                        ;     Parent Loop BB6_22 Depth=2
                                        ; =>    This Loop Header: Depth=3
                                        ;         Child Loop BB6_36 Depth 4
	s_and_b64 vcc, exec, s[40:41]
	v_add_u32_e32 v20, v18, v30
	s_cbranch_vccz .LBB6_42
; %bb.28:                               ;   in Loop: Header=BB6_27 Depth=3
	v_add_u32_e32 v22, v18, v30
	v_add_u32_e32 v21, v18, v9
	s_cbranch_execnz .LBB6_30
.LBB6_29:                               ;   in Loop: Header=BB6_27 Depth=3
	v_mad_u64_u32 v[22:23], s[12:13], v21, s15, v[16:17]
.LBB6_30:                               ;   in Loop: Header=BB6_27 Depth=3
	v_ashrrev_i32_e32 v23, 31, v22
	v_lshl_add_u64 v[22:23], v[22:23], 2, s[20:21]
	global_load_dword v22, v[22:23], off
	s_and_b64 vcc, exec, s[40:41]
	s_cbranch_vccz .LBB6_43
; %bb.31:                               ;   in Loop: Header=BB6_27 Depth=3
	s_cbranch_execnz .LBB6_33
.LBB6_32:                               ;   in Loop: Header=BB6_27 Depth=3
	v_mad_u64_u32 v[20:21], s[12:13], v21, s15, v[16:17]
.LBB6_33:                               ;   in Loop: Header=BB6_27 Depth=3
	s_waitcnt vmcnt(0)
	v_div_scale_f32 v21, s[12:13], v29, v29, v22
	v_rcp_f32_e32 v23, v21
	v_div_scale_f32 v32, vcc, v22, v29, v22
	v_fma_f32 v33, -v21, v23, 1.0
	v_fmac_f32_e32 v23, v33, v23
	v_mul_f32_e32 v33, v32, v23
	v_fma_f32 v34, -v21, v33, v32
	v_fmac_f32_e32 v33, v34, v23
	v_fma_f32 v21, -v21, v33, v32
	v_div_fmas_f32 v21, v21, v23, v33
	v_div_fixup_f32 v22, v21, v29, v22
	v_ashrrev_i32_e32 v21, 31, v20
	v_lshl_add_u64 v[20:21], v[20:21], 2, s[20:21]
	global_store_dword v[20:21], v22, off
	s_and_saveexec_b64 s[58:59], s[10:11]
	s_cbranch_execz .LBB6_26
; %bb.34:                               ;   in Loop: Header=BB6_27 Depth=3
	s_mov_b32 s64, s63
	v_mov_b32_e32 v23, v31
	v_mov_b32_e32 v32, v14
	;; [unrolled: 1-line block ×3, first 2 shown]
	s_branch .LBB6_36
.LBB6_35:                               ;   in Loop: Header=BB6_36 Depth=4
	v_ashrrev_i32_e32 v21, 31, v20
	s_add_i32 s64, s64, -1
	s_waitcnt vmcnt(0)
	v_fma_f32 v34, -v22, v34, v36
	v_lshl_add_u64 v[20:21], v[20:21], 2, s[20:21]
	v_add_u32_e32 v33, 1, v33
	v_add_u32_e32 v32, 1, v32
	s_cmp_eq_u32 s64, 0
	v_add_u32_e32 v23, 1, v23
	global_store_dword v[20:21], v34, off
	s_cbranch_scc1 .LBB6_26
.LBB6_36:                               ;   Parent Loop BB6_14 Depth=1
                                        ;     Parent Loop BB6_22 Depth=2
                                        ;       Parent Loop BB6_27 Depth=3
                                        ; =>      This Inner Loop Header: Depth=4
	v_cndmask_b32_e64 v20, 0, 1, s[40:41]
	v_cmp_ne_u32_e64 s[12:13], 1, v20
	s_andn2_b64 vcc, exec, s[40:41]
	v_mov_b32_e32 v20, v32
	s_cbranch_vccnz .LBB6_38
; %bb.37:                               ;   in Loop: Header=BB6_36 Depth=4
	v_add_u32_e32 v20, v33, v27
	v_mad_u64_u32 v[20:21], s[66:67], v20, s15, v[16:17]
.LBB6_38:                               ;   in Loop: Header=BB6_36 Depth=4
	v_ashrrev_i32_e32 v21, 31, v20
	v_lshl_add_u64 v[20:21], v[20:21], 2, s[20:21]
	global_load_dword v34, v[20:21], off
	s_and_b64 vcc, exec, s[12:13]
	v_add_u32_e32 v35, v33, v9
	v_mov_b32_e32 v20, v23
	s_cbranch_vccnz .LBB6_40
; %bb.39:                               ;   in Loop: Header=BB6_36 Depth=4
	v_mad_u64_u32 v[20:21], s[66:67], v35, s15, v[18:19]
.LBB6_40:                               ;   in Loop: Header=BB6_36 Depth=4
	v_ashrrev_i32_e32 v21, 31, v20
	v_lshl_add_u64 v[20:21], v[20:21], 2, s[20:21]
	global_load_dword v36, v[20:21], off
	s_and_b64 vcc, exec, s[12:13]
	v_mov_b32_e32 v20, v23
	s_cbranch_vccnz .LBB6_35
; %bb.41:                               ;   in Loop: Header=BB6_36 Depth=4
	v_mad_u64_u32 v[20:21], s[12:13], v35, s15, v[18:19]
	s_branch .LBB6_35
.LBB6_42:                               ;   in Loop: Header=BB6_27 Depth=3
                                        ; implicit-def: $vgpr22
	v_add_u32_e32 v21, v18, v9
	s_branch .LBB6_29
.LBB6_43:                               ;   in Loop: Header=BB6_27 Depth=3
                                        ; implicit-def: $vgpr20
	s_branch .LBB6_32
.LBB6_44:                               ;   in Loop: Header=BB6_14 Depth=1
	s_or_b64 exec, exec, s[52:53]
.LBB6_45:                               ;   in Loop: Header=BB6_14 Depth=1
	v_subrev_u32_e32 v20, s14, v19
	v_add_u32_e32 v14, 1, v17
	v_cmp_lt_i32_e32 vcc, v14, v20
	s_and_saveexec_b64 s[10:11], vcc
	s_cbranch_execz .LBB6_12
; %bb.46:                               ;   in Loop: Header=BB6_14 Depth=1
	v_mul_lo_u32 v21, s35, v14
	s_mov_b64 s[12:13], 0
	s_branch .LBB6_49
.LBB6_47:                               ;   in Loop: Header=BB6_49 Depth=2
	s_or_b64 exec, exec, s[52:53]
.LBB6_48:                               ;   in Loop: Header=BB6_49 Depth=2
	v_add_u32_e32 v14, 1, v14
	v_cmp_ge_i32_e32 vcc, v14, v20
	s_or_b64 s[12:13], vcc, s[12:13]
	v_add_u32_e32 v21, s35, v21
	s_andn2_b64 exec, exec, s[12:13]
	s_cbranch_execz .LBB6_12
.LBB6_49:                               ;   Parent Loop BB6_14 Depth=1
                                        ; =>  This Loop Header: Depth=2
                                        ;       Child Loop BB6_54 Depth 3
                                        ;       Child Loop BB6_61 Depth 3
                                        ;         Child Loop BB6_63 Depth 4
                                        ;           Child Loop BB6_65 Depth 5
	v_ashrrev_i32_e32 v15, 31, v14
	s_waitcnt lgkmcnt(0)
	v_lshl_add_u64 v[16:17], v[14:15], 2, s[18:19]
	global_load_dword v15, v[16:17], off
	v_mov_b32_e32 v17, s33
	s_and_saveexec_b64 s[52:53], s[4:5]
	s_cbranch_execz .LBB6_51
; %bb.50:                               ;   in Loop: Header=BB6_49 Depth=2
	global_load_dword v16, v[12:13], off
	s_waitcnt vmcnt(0)
	v_subrev_u32_e32 v17, s14, v16
.LBB6_51:                               ;   in Loop: Header=BB6_49 Depth=2
	s_or_b64 exec, exec, s[52:53]
	s_waitcnt vmcnt(0)
	v_subrev_u32_e32 v15, s14, v15
	v_cmp_lt_i32_e32 vcc, v17, v15
	v_mov_b32_e32 v18, v10
	s_and_saveexec_b64 s[52:53], vcc
	s_cbranch_execz .LBB6_57
; %bb.52:                               ;   in Loop: Header=BB6_49 Depth=2
	s_mov_b64 s[54:55], 0
	v_mov_b32_e32 v16, v10
	s_branch .LBB6_54
.LBB6_53:                               ;   in Loop: Header=BB6_54 Depth=3
	s_or_b64 exec, exec, s[56:57]
	v_cmp_ge_i32_e32 vcc, v17, v15
	s_or_b64 s[54:55], vcc, s[54:55]
	v_mov_b32_e32 v16, v18
	s_andn2_b64 exec, exec, s[54:55]
	s_cbranch_execz .LBB6_56
.LBB6_54:                               ;   Parent Loop BB6_14 Depth=1
                                        ;     Parent Loop BB6_49 Depth=2
                                        ; =>    This Inner Loop Header: Depth=3
	v_add_u32_e32 v18, 64, v16
	v_cmp_lt_i32_e32 vcc, v18, v1
	v_mov_b32_e32 v17, s33
	s_and_saveexec_b64 s[56:57], vcc
	s_cbranch_execz .LBB6_53
; %bb.55:                               ;   in Loop: Header=BB6_54 Depth=3
	v_ashrrev_i32_e32 v17, 31, v16
	v_lshl_add_u64 v[16:17], v[16:17], 2, s[18:19]
	global_load_dword v16, v[16:17], off offset:256
	s_waitcnt vmcnt(0)
	v_subrev_u32_e32 v17, s14, v16
	s_branch .LBB6_53
.LBB6_56:                               ;   in Loop: Header=BB6_49 Depth=2
	s_or_b64 exec, exec, s[54:55]
.LBB6_57:                               ;   in Loop: Header=BB6_49 Depth=2
	s_or_b64 exec, exec, s[52:53]
	v_cmp_eq_u32_e32 vcc, v17, v15
	s_cbranch_vccz .LBB6_48
; %bb.58:                               ;   in Loop: Header=BB6_49 Depth=2
	s_ff1_i32_b64 s52, vcc
	v_and_or_b32 v15, v26, 64, s52
	v_lshlrev_b32_e32 v15, 2, v15
	ds_bpermute_b32 v16, v15, v18
	s_and_saveexec_b64 s[52:53], s[0:1]
	s_cbranch_execz .LBB6_47
; %bb.59:                               ;   in Loop: Header=BB6_49 Depth=2
	v_mul_lo_u32 v15, v14, s15
	s_waitcnt lgkmcnt(0)
	v_mul_lo_u32 v17, v16, s15
	s_mov_b64 s[54:55], 0
	v_mov_b32_e32 v22, v5
	v_mov_b32_e32 v16, v0
	s_branch .LBB6_61
.LBB6_60:                               ;   in Loop: Header=BB6_61 Depth=3
	v_add_u32_e32 v16, 64, v16
	v_cmp_le_i32_e32 vcc, s15, v16
	s_or_b64 s[54:55], vcc, s[54:55]
	v_add_u32_e32 v22, s61, v22
	s_andn2_b64 exec, exec, s[54:55]
	s_cbranch_execz .LBB6_47
.LBB6_61:                               ;   Parent Loop BB6_14 Depth=1
                                        ;     Parent Loop BB6_49 Depth=2
                                        ; =>    This Loop Header: Depth=3
                                        ;         Child Loop BB6_63 Depth 4
                                        ;           Child Loop BB6_65 Depth 5
	v_add_u32_e32 v18, v16, v17
	v_mul_lo_u32 v23, v18, s15
	s_mov_b32 s58, 0
	v_mov_b32_e32 v27, v21
	s_branch .LBB6_63
.LBB6_62:                               ;   in Loop: Header=BB6_63 Depth=4
	v_ashrrev_i32_e32 v19, 31, v18
	v_lshl_add_u64 v[18:19], v[18:19], 2, s[20:21]
	global_load_dword v29, v[18:19], off
	s_add_i32 s58, s58, 1
	s_cmp_eq_u32 s58, s15
	v_add_u32_e32 v27, 1, v27
	s_waitcnt vmcnt(0)
	v_sub_f32_e32 v28, v29, v28
	global_store_dword v[18:19], v28, off
	s_cbranch_scc1 .LBB6_60
.LBB6_63:                               ;   Parent Loop BB6_14 Depth=1
                                        ;     Parent Loop BB6_49 Depth=2
                                        ;       Parent Loop BB6_61 Depth=3
                                        ; =>      This Loop Header: Depth=4
                                        ;           Child Loop BB6_65 Depth 5
	v_add_u32_e32 v18, s58, v15
	v_mul_lo_u32 v29, v18, s15
	v_mov_b32_e32 v28, 0
	v_mov_b32_e32 v30, v27
	s_mov_b32 s59, 0
	s_branch .LBB6_65
.LBB6_64:                               ;   in Loop: Header=BB6_65 Depth=5
	v_ashrrev_i32_e32 v19, 31, v18
	v_lshl_add_u64 v[18:19], v[18:19], 2, s[20:21]
	global_load_dword v18, v[18:19], off
	s_add_i32 s59, s59, 1
	s_cmp_eq_u32 s15, s59
	v_add_u32_e32 v30, s15, v30
	s_waitcnt vmcnt(0)
	v_fmac_f32_e32 v28, v31, v18
	s_cbranch_scc1 .LBB6_71
.LBB6_65:                               ;   Parent Loop BB6_14 Depth=1
                                        ;     Parent Loop BB6_49 Depth=2
                                        ;       Parent Loop BB6_61 Depth=3
                                        ;         Parent Loop BB6_63 Depth=4
                                        ; =>        This Inner Loop Header: Depth=5
	s_and_b64 vcc, exec, s[40:41]
	s_cbranch_vccz .LBB6_70
; %bb.66:                               ;   in Loop: Header=BB6_65 Depth=5
	v_add_u32_e32 v18, s59, v9
	v_mad_u64_u32 v[18:19], s[56:57], v18, s15, v[16:17]
	s_cbranch_execnz .LBB6_68
.LBB6_67:                               ;   in Loop: Header=BB6_65 Depth=5
	v_add_u32_e32 v18, s59, v22
.LBB6_68:                               ;   in Loop: Header=BB6_65 Depth=5
	v_ashrrev_i32_e32 v19, 31, v18
	v_lshl_add_u64 v[18:19], v[18:19], 2, s[20:21]
	global_load_dword v31, v[18:19], off
	s_andn2_b64 vcc, exec, s[40:41]
	v_mov_b32_e32 v18, v30
	s_cbranch_vccnz .LBB6_64
; %bb.69:                               ;   in Loop: Header=BB6_65 Depth=5
	v_add_u32_e32 v18, s59, v29
	s_branch .LBB6_64
.LBB6_70:                               ;   in Loop: Header=BB6_65 Depth=5
                                        ; implicit-def: $vgpr18
	s_branch .LBB6_67
.LBB6_71:                               ;   in Loop: Header=BB6_63 Depth=4
	s_and_b64 vcc, exec, s[40:41]
	s_cbranch_vccz .LBB6_73
; %bb.72:                               ;   in Loop: Header=BB6_63 Depth=4
	v_add_u32_e32 v18, s58, v17
	v_mad_u64_u32 v[18:19], s[56:57], v18, s15, v[16:17]
	s_cbranch_execnz .LBB6_62
	s_branch .LBB6_74
.LBB6_73:                               ;   in Loop: Header=BB6_63 Depth=4
                                        ; implicit-def: $vgpr18
.LBB6_74:                               ;   in Loop: Header=BB6_63 Depth=4
	v_add_u32_e32 v18, s58, v23
	s_branch .LBB6_62
.LBB6_75:
	s_or_b64 exec, exec, s[42:43]
	s_and_b64 s[8:9], s[44:45], exec
.LBB6_76:
	s_or_b64 exec, exec, s[38:39]
	v_ashrrev_i32_e32 v5, 31, v4
	v_lshl_add_u64 v[8:9], v[4:5], 2, s[18:19]
	global_load_dword v5, v[8:9], off
	s_waitcnt lgkmcnt(0)
	s_cmp_gt_i32 s15, 0
	s_cselect_b64 s[10:11], -1, 0
	s_waitcnt vmcnt(0)
	v_subrev_u32_e32 v5, s14, v5
	v_cmp_eq_u32_e32 vcc, v5, v2
	s_and_b64 s[0:1], s[10:11], vcc
	s_and_saveexec_b64 s[12:13], s[0:1]
	s_cbranch_execz .LBB6_110
; %bb.77:
	s_cmp_eq_u64 s[24:25], 8
	v_cvt_f64_f32_e32 v[8:9], v25
	s_cselect_b64 vcc, -1, 0
	s_mul_i32 s2, s15, s15
	v_cndmask_b32_e32 v7, v9, v7, vcc
	v_cndmask_b32_e32 v6, v8, v6, vcc
	s_cmp_lg_u32 s34, 0
	v_mul_lo_u32 v5, v4, s15
	v_mad_u64_u32 v[8:9], s[2:3], v4, s2, 1
	s_cselect_b64 s[16:17], -1, 0
	v_add_u32_e32 v9, v5, v0
	v_cndmask_b32_e64 v11, 0, 1, s[36:37]
	s_add_i32 s33, s15, 1
	v_mul_lo_u32 v9, s15, v9
	v_cmp_ne_u32_e64 s[2:3], 1, v11
	v_cndmask_b32_e64 v11, 0, 1, s[16:17]
	v_cmp_eq_u32_e64 s[0:1], 0, v0
	v_add_u32_e32 v9, s33, v9
	s_lshl_b32 s35, s15, 6
	s_add_i32 s46, s15, -1
	v_mov_b32_e32 v10, 0
	s_mov_b64 s[18:19], 0
	v_cmp_ne_u32_e64 s[4:5], 1, v11
	s_mov_b64 s[24:25], s[8:9]
                                        ; implicit-def: $sgpr22_sgpr23
	s_branch .LBB6_79
.LBB6_78:                               ;   in Loop: Header=BB6_79 Depth=1
	s_or_b64 exec, exec, s[6:7]
	s_add_i32 s46, s46, -1
	v_cmp_eq_u32_e32 vcc, s15, v13
	s_or_b64 s[18:19], vcc, s[18:19]
	s_andn2_b64 s[6:7], s[22:23], exec
	s_and_b64 s[22:23], s[24:25], exec
	v_add_u32_e32 v8, s33, v8
	v_add_u32_e32 v9, s33, v9
	s_or_b64 s[22:23], s[6:7], s[22:23]
	v_mov_b32_e32 v10, v13
	s_andn2_b64 exec, exec, s[18:19]
	s_cbranch_execz .LBB6_109
.LBB6_79:                               ; =>This Loop Header: Depth=1
                                        ;     Child Loop BB6_89 Depth 2
                                        ;       Child Loop BB6_98 Depth 3
	v_add_u32_e32 v11, v10, v5
	v_mul_lo_u32 v11, v11, s15
	v_add_u32_e32 v12, v11, v10
	v_ashrrev_i32_e32 v13, 31, v12
	v_lshl_add_u64 v[12:13], v[12:13], 2, s[20:21]
	global_load_dword v18, v[12:13], off
	s_mov_b64 s[36:37], -1
	s_and_b64 vcc, exec, s[2:3]
	s_mov_b64 s[6:7], 0
                                        ; implicit-def: $vgpr14
	s_cbranch_vccnz .LBB6_83
; %bb.80:                               ;   in Loop: Header=BB6_79 Depth=1
	s_waitcnt vmcnt(0)
	v_cmp_gt_f32_e32 vcc, 0, v18
	s_nop 1
	v_cndmask_b32_e64 v14, v18, -v18, vcc
	v_cvt_f64_f32_e32 v[14:15], v14
	v_cmp_ge_f64_e32 vcc, v[6:7], v[14:15]
	s_nop 1
	v_cndmask_b32_e32 v14, v18, v24, vcc
	s_and_saveexec_b64 s[6:7], s[0:1]
	s_cbranch_execz .LBB6_82
; %bb.81:                               ;   in Loop: Header=BB6_79 Depth=1
	global_store_dword v[12:13], v14, off
.LBB6_82:                               ;   in Loop: Header=BB6_79 Depth=1
	s_or_b64 exec, exec, s[6:7]
	s_mov_b64 s[36:37], 0
	s_mov_b64 s[6:7], -1
.LBB6_83:                               ;   in Loop: Header=BB6_79 Depth=1
	s_andn2_b64 vcc, exec, s[36:37]
	s_mov_b64 s[36:37], 0
	s_cbranch_vccnz .LBB6_85
; %bb.84:                               ;   in Loop: Header=BB6_79 Depth=1
	s_waitcnt vmcnt(0)
	v_cmp_neq_f32_e32 vcc, 0, v18
	s_andn2_b64 s[6:7], s[6:7], exec
	s_and_b64 s[38:39], vcc, exec
	s_mov_b64 s[36:37], -1
	s_or_b64 s[6:7], s[6:7], s[38:39]
                                        ; implicit-def: $vgpr13
	s_and_saveexec_b64 s[38:39], s[6:7]
	s_xor_b64 s[38:39], exec, s[38:39]
	s_cbranch_execnz .LBB6_86
	s_branch .LBB6_107
.LBB6_85:                               ;   in Loop: Header=BB6_79 Depth=1
	s_waitcnt vmcnt(0)
	v_mov_b32_e32 v18, v14
                                        ; implicit-def: $vgpr13
	s_and_saveexec_b64 s[38:39], s[6:7]
	s_xor_b64 s[38:39], exec, s[38:39]
	s_cbranch_execz .LBB6_107
.LBB6_86:                               ;   in Loop: Header=BB6_79 Depth=1
	v_add_u32_e32 v13, 1, v10
	v_add_u32_e32 v12, v13, v0
	v_cmp_gt_i32_e32 vcc, s15, v12
	s_and_saveexec_b64 s[40:41], vcc
	s_cbranch_execz .LBB6_106
; %bb.87:                               ;   in Loop: Header=BB6_79 Depth=1
	v_cmp_gt_i32_e64 s[6:7], s15, v13
	s_mov_b64 s[42:43], 0
	v_mov_b32_e32 v19, v9
	s_branch .LBB6_89
.LBB6_88:                               ;   in Loop: Header=BB6_89 Depth=2
	s_or_b64 exec, exec, s[44:45]
	v_add_u32_e32 v12, 64, v12
	v_cmp_le_i32_e32 vcc, s15, v12
	s_or_b64 s[42:43], vcc, s[42:43]
	v_add_u32_e32 v19, s35, v19
	s_andn2_b64 exec, exec, s[42:43]
	s_cbranch_execz .LBB6_106
.LBB6_89:                               ;   Parent Loop BB6_79 Depth=1
                                        ; =>  This Loop Header: Depth=2
                                        ;       Child Loop BB6_98 Depth 3
	s_and_b64 vcc, exec, s[16:17]
	v_add_u32_e32 v14, v12, v11
	s_cbranch_vccz .LBB6_104
; %bb.90:                               ;   in Loop: Header=BB6_89 Depth=2
	v_add_u32_e32 v16, v12, v11
	s_cbranch_execnz .LBB6_92
.LBB6_91:                               ;   in Loop: Header=BB6_89 Depth=2
	v_add_u32_e32 v15, v12, v5
	v_mad_u64_u32 v[16:17], s[44:45], v15, s15, v[10:11]
.LBB6_92:                               ;   in Loop: Header=BB6_89 Depth=2
	v_ashrrev_i32_e32 v17, 31, v16
	v_lshl_add_u64 v[16:17], v[16:17], 2, s[20:21]
	global_load_dword v16, v[16:17], off
	s_and_b64 vcc, exec, s[16:17]
	s_cbranch_vccz .LBB6_105
; %bb.93:                               ;   in Loop: Header=BB6_89 Depth=2
	s_cbranch_execnz .LBB6_95
.LBB6_94:                               ;   in Loop: Header=BB6_89 Depth=2
	v_add_u32_e32 v14, v12, v5
	v_mad_u64_u32 v[14:15], s[44:45], v14, s15, v[10:11]
.LBB6_95:                               ;   in Loop: Header=BB6_89 Depth=2
	s_waitcnt vmcnt(0)
	v_div_scale_f32 v15, s[44:45], v18, v18, v16
	v_rcp_f32_e32 v17, v15
	v_div_scale_f32 v20, vcc, v16, v18, v16
	v_fma_f32 v21, -v15, v17, 1.0
	v_fmac_f32_e32 v17, v21, v17
	v_mul_f32_e32 v21, v20, v17
	v_fma_f32 v22, -v15, v21, v20
	v_fmac_f32_e32 v21, v22, v17
	v_fma_f32 v15, -v15, v21, v20
	v_div_fmas_f32 v15, v15, v17, v21
	v_div_fixup_f32 v16, v15, v18, v16
	v_ashrrev_i32_e32 v15, 31, v14
	v_lshl_add_u64 v[14:15], v[14:15], 2, s[20:21]
	global_store_dword v[14:15], v16, off
	s_and_saveexec_b64 s[44:45], s[6:7]
	s_cbranch_execz .LBB6_88
; %bb.96:                               ;   in Loop: Header=BB6_89 Depth=2
	s_mov_b32 s47, s46
	v_mov_b32_e32 v17, v19
	v_mov_b32_e32 v20, v8
	;; [unrolled: 1-line block ×3, first 2 shown]
	s_branch .LBB6_98
.LBB6_97:                               ;   in Loop: Header=BB6_98 Depth=3
	v_ashrrev_i32_e32 v15, 31, v14
	s_add_i32 s47, s47, -1
	s_waitcnt vmcnt(0)
	v_fma_f32 v22, -v16, v23, v25
	v_lshl_add_u64 v[14:15], v[14:15], 2, s[20:21]
	v_add_u32_e32 v21, 1, v21
	v_add_u32_e32 v20, 1, v20
	s_cmp_eq_u32 s47, 0
	v_add_u32_e32 v17, 1, v17
	global_store_dword v[14:15], v22, off
	s_cbranch_scc1 .LBB6_88
.LBB6_98:                               ;   Parent Loop BB6_79 Depth=1
                                        ;     Parent Loop BB6_89 Depth=2
                                        ; =>    This Inner Loop Header: Depth=3
	s_and_b64 vcc, exec, s[4:5]
	v_add_u32_e32 v22, v21, v5
	v_mov_b32_e32 v14, v20
	s_cbranch_vccnz .LBB6_100
; %bb.99:                               ;   in Loop: Header=BB6_98 Depth=3
	v_mad_u64_u32 v[14:15], s[48:49], v22, s15, v[10:11]
.LBB6_100:                              ;   in Loop: Header=BB6_98 Depth=3
	v_ashrrev_i32_e32 v15, 31, v14
	v_lshl_add_u64 v[14:15], v[14:15], 2, s[20:21]
	global_load_dword v23, v[14:15], off
	s_and_b64 vcc, exec, s[4:5]
	v_mov_b32_e32 v14, v17
	s_cbranch_vccnz .LBB6_102
; %bb.101:                              ;   in Loop: Header=BB6_98 Depth=3
	v_mad_u64_u32 v[14:15], s[48:49], v22, s15, v[12:13]
.LBB6_102:                              ;   in Loop: Header=BB6_98 Depth=3
	v_ashrrev_i32_e32 v15, 31, v14
	v_lshl_add_u64 v[14:15], v[14:15], 2, s[20:21]
	global_load_dword v25, v[14:15], off
	s_and_b64 vcc, exec, s[4:5]
	v_mov_b32_e32 v14, v17
	s_cbranch_vccnz .LBB6_97
; %bb.103:                              ;   in Loop: Header=BB6_98 Depth=3
	v_mad_u64_u32 v[14:15], s[48:49], v22, s15, v[12:13]
	s_branch .LBB6_97
.LBB6_104:                              ;   in Loop: Header=BB6_89 Depth=2
                                        ; implicit-def: $vgpr16
	s_branch .LBB6_91
.LBB6_105:                              ;   in Loop: Header=BB6_89 Depth=2
                                        ; implicit-def: $vgpr14
	s_branch .LBB6_94
.LBB6_106:                              ;   in Loop: Header=BB6_79 Depth=1
	s_or_b64 exec, exec, s[40:41]
	s_andn2_b64 s[36:37], s[36:37], exec
.LBB6_107:                              ;   in Loop: Header=BB6_79 Depth=1
	s_or_b64 exec, exec, s[38:39]
	s_andn2_b64 s[6:7], s[24:25], exec
	s_and_b64 s[24:25], s[24:25], exec
	s_or_b64 s[24:25], s[6:7], s[24:25]
	s_and_saveexec_b64 s[6:7], s[36:37]
	s_cbranch_execz .LBB6_78
; %bb.108:                              ;   in Loop: Header=BB6_79 Depth=1
	v_add_u32_e32 v13, 1, v10
	s_or_b64 s[24:25], s[24:25], exec
	s_branch .LBB6_78
.LBB6_109:
	s_or_b64 exec, exec, s[18:19]
	s_andn2_b64 s[0:1], s[8:9], exec
	s_and_b64 s[2:3], s[22:23], exec
	s_or_b64 s[8:9], s[0:1], s[2:3]
.LBB6_110:
	s_or_b64 exec, exec, s[12:13]
	v_add_u32_e32 v8, 1, v4
	v_cmp_lt_i32_e32 vcc, v8, v1
	s_and_saveexec_b64 s[6:7], vcc
	s_cbranch_execz .LBB6_134
; %bb.111:
	v_mul_lo_u32 v9, v4, s15
	v_mul_lo_u32 v4, s15, v9
	s_mul_i32 s25, s15, s15
	v_add_u32_e32 v10, s15, v4
	v_mul_lo_u32 v4, s25, v8
	s_cmp_lg_u32 s34, 0
	v_add3_u32 v11, v4, s15, v0
	v_cndmask_b32_e64 v4, 0, 1, s[10:11]
	v_cmp_gt_i32_e64 s[0:1], s15, v0
	s_cselect_b64 s[12:13], -1, 0
	s_add_i32 s24, s15, 1
	s_add_i32 s33, s15, -1
	s_mov_b64 s[16:17], 0
	v_cmp_ne_u32_e64 s[2:3], 1, v4
	s_branch .LBB6_113
.LBB6_112:                              ;   in Loop: Header=BB6_113 Depth=1
	v_add_u32_e32 v8, 1, v8
	v_cmp_ge_i32_e32 vcc, v8, v1
	s_or_b64 s[16:17], vcc, s[16:17]
	v_add_u32_e32 v11, s25, v11
	s_andn2_b64 exec, exec, s[16:17]
	s_cbranch_execz .LBB6_134
.LBB6_113:                              ; =>This Loop Header: Depth=1
                                        ;     Child Loop BB6_116 Depth 2
                                        ;       Child Loop BB6_119 Depth 3
                                        ;         Child Loop BB6_122 Depth 4
	s_and_b64 vcc, exec, s[2:3]
	s_cbranch_vccnz .LBB6_112
; %bb.114:                              ;   in Loop: Header=BB6_113 Depth=1
	v_mul_lo_u32 v12, v8, s15
	s_mov_b32 s35, 0
	s_mov_b32 s34, s33
	v_mov_b32_e32 v13, v11
	v_mov_b32_e32 v14, v10
	s_branch .LBB6_116
.LBB6_115:                              ;   in Loop: Header=BB6_116 Depth=2
	s_or_b64 exec, exec, s[10:11]
	s_add_i32 s34, s34, -1
	v_add_u32_e32 v14, s24, v14
	v_add_u32_e32 v13, s15, v13
	s_cmp_eq_u32 s36, s15
	s_mov_b32 s35, s36
	s_cbranch_scc1 .LBB6_112
.LBB6_116:                              ;   Parent Loop BB6_113 Depth=1
                                        ; =>  This Loop Header: Depth=2
                                        ;       Child Loop BB6_119 Depth 3
                                        ;         Child Loop BB6_122 Depth 4
	s_add_i32 s36, s35, 1
	s_and_saveexec_b64 s[10:11], s[0:1]
	s_cbranch_execz .LBB6_115
; %bb.117:                              ;   in Loop: Header=BB6_116 Depth=2
	s_cmp_lt_i32 s36, s15
	v_add_u32_e32 v4, s35, v9
	v_mul_lo_u32 v15, v4, s15
	v_add_u32_e32 v4, s35, v12
	s_cselect_b64 s[4:5], -1, 0
	v_mul_lo_u32 v16, v4, s15
	v_cndmask_b32_e64 v4, 0, 1, s[4:5]
	s_mov_b64 s[18:19], 0
	v_cmp_ne_u32_e64 s[4:5], 1, v4
	v_mov_b32_e32 v17, v13
	v_mov_b32_e32 v18, v0
	s_branch .LBB6_119
.LBB6_118:                              ;   in Loop: Header=BB6_119 Depth=3
	v_add_u32_e32 v18, 64, v18
	v_cmp_le_i32_e32 vcc, s15, v18
	s_or_b64 s[18:19], vcc, s[18:19]
	v_add_u32_e32 v17, 64, v17
	s_andn2_b64 exec, exec, s[18:19]
	s_cbranch_execz .LBB6_115
.LBB6_119:                              ;   Parent Loop BB6_113 Depth=1
                                        ;     Parent Loop BB6_116 Depth=2
                                        ; =>    This Loop Header: Depth=3
                                        ;         Child Loop BB6_122 Depth 4
	s_and_b64 vcc, exec, s[4:5]
	s_cbranch_vccnz .LBB6_118
; %bb.120:                              ;   in Loop: Header=BB6_119 Depth=3
	v_add_u32_e32 v4, v18, v12
	v_mul_lo_u32 v19, v4, s15
	v_add_u32_e32 v20, s35, v19
	v_add_u32_e32 v21, v18, v16
	s_mov_b32 s37, 0
	s_mov_b32 s38, s34
	;; [unrolled: 1-line block ×3, first 2 shown]
	s_branch .LBB6_122
.LBB6_121:                              ;   in Loop: Header=BB6_122 Depth=4
	s_waitcnt vmcnt(0)
	v_fma_f32 v6, -v5, v22, v6
	v_ashrrev_i32_e32 v5, 31, v4
	s_add_i32 s39, s39, 1
	s_add_i32 s37, s37, s15
	s_add_i32 s38, s38, -1
	v_lshl_add_u64 v[4:5], v[4:5], 2, s[20:21]
	s_cmp_eq_u32 s38, 0
	global_store_dword v[4:5], v6, off
	s_cbranch_scc1 .LBB6_118
.LBB6_122:                              ;   Parent Loop BB6_113 Depth=1
                                        ;     Parent Loop BB6_116 Depth=2
                                        ;       Parent Loop BB6_119 Depth=3
                                        ; =>      This Inner Loop Header: Depth=4
	s_and_b64 vcc, exec, s[12:13]
	s_cbranch_vccz .LBB6_130
; %bb.123:                              ;   in Loop: Header=BB6_122 Depth=4
	v_add_u32_e32 v4, s39, v15
	v_mov_b32_e32 v6, v20
	s_cbranch_execnz .LBB6_125
.LBB6_124:                              ;   in Loop: Header=BB6_122 Depth=4
	v_add_u32_e32 v4, s37, v14
	v_mov_b32_e32 v6, v21
.LBB6_125:                              ;   in Loop: Header=BB6_122 Depth=4
	v_ashrrev_i32_e32 v5, 31, v4
	v_lshl_add_u64 v[24:25], v[4:5], 2, s[20:21]
	v_ashrrev_i32_e32 v7, 31, v6
	v_lshl_add_u64 v[6:7], v[6:7], 2, s[20:21]
	global_load_dword v5, v[24:25], off
	global_load_dword v22, v[6:7], off
	s_and_b64 vcc, exec, s[12:13]
	v_add_u32_e32 v4, s39, v19
	s_cbranch_vccz .LBB6_131
; %bb.126:                              ;   in Loop: Header=BB6_122 Depth=4
	v_add_u32_e32 v6, s39, v19
	v_add_u32_e32 v23, s37, v17
	s_cbranch_execnz .LBB6_128
.LBB6_127:                              ;   in Loop: Header=BB6_122 Depth=4
	v_add_u32_e32 v6, s37, v17
.LBB6_128:                              ;   in Loop: Header=BB6_122 Depth=4
	v_ashrrev_i32_e32 v7, 31, v6
	v_lshl_add_u64 v[6:7], v[6:7], 2, s[20:21]
	global_load_dword v6, v[6:7], off
	s_and_b64 vcc, exec, s[12:13]
	s_cbranch_vccz .LBB6_132
; %bb.129:                              ;   in Loop: Header=BB6_122 Depth=4
	s_cbranch_execnz .LBB6_121
	s_branch .LBB6_133
.LBB6_130:                              ;   in Loop: Header=BB6_122 Depth=4
                                        ; implicit-def: $vgpr4
	v_mov_b32_e32 v6, v20
	s_branch .LBB6_124
.LBB6_131:                              ;   in Loop: Header=BB6_122 Depth=4
                                        ; implicit-def: $vgpr6
	v_add_u32_e32 v23, s37, v17
	s_branch .LBB6_127
.LBB6_132:                              ;   in Loop: Header=BB6_122 Depth=4
                                        ; implicit-def: $vgpr4
.LBB6_133:                              ;   in Loop: Header=BB6_122 Depth=4
	v_mov_b32_e32 v4, v23
	s_branch .LBB6_121
.LBB6_134:
	s_or_b64 exec, exec, s[6:7]
	s_orn2_b64 s[2:3], s[8:9], exec
.LBB6_135:
	s_or_b64 exec, exec, s[30:31]
	v_cmp_eq_u32_e32 vcc, 0, v0
	s_and_b64 exec, exec, vcc
	s_cbranch_execz .LBB6_141
; %bb.136:
	v_lshl_add_u64 v[0:1], v[2:3], 2, s[28:29]
	v_mov_b32_e32 v3, 1
	buffer_wbl2 sc1
	s_waitcnt vmcnt(0)
	global_store_dword v[0:1], v3, off sc1
	s_and_b64 exec, exec, s[2:3]
	s_cbranch_execz .LBB6_141
; %bb.137:
	s_mov_b64 s[0:1], exec
	v_add_u32_e32 v0, s14, v2
	s_brev_b32 s2, -2
.LBB6_138:                              ; =>This Inner Loop Header: Depth=1
	s_ff1_i32_b64 s3, s[0:1]
	v_readlane_b32 s6, v0, s3
	s_lshl_b64 s[4:5], 1, s3
	s_min_i32 s2, s2, s6
	s_andn2_b64 s[0:1], s[0:1], s[4:5]
	s_cmp_lg_u64 s[0:1], 0
	s_cbranch_scc1 .LBB6_138
; %bb.139:
	v_mbcnt_lo_u32_b32 v0, exec_lo, 0
	v_mbcnt_hi_u32_b32 v0, exec_hi, v0
	v_cmp_eq_u32_e32 vcc, 0, v0
	s_and_saveexec_b64 s[0:1], vcc
	s_xor_b64 s[0:1], exec, s[0:1]
	s_cbranch_execz .LBB6_141
; %bb.140:
	v_mov_b32_e32 v0, 0
	v_mov_b32_e32 v1, s2
	global_atomic_smin v0, v1, s[26:27]
.LBB6_141:
	s_endpgm
	.section	.rodata,"a",@progbits
	.p2align	6, 0x0
	.amdhsa_kernel _ZN9rocsparseL15bsrilu0_generalILj128ELj64ELb0EfEEv20rocsparse_direction_iPKiS3_PT2_S3_iPiS3_S6_21rocsparse_index_base_imNS_24const_host_device_scalarIfEENS8_IdEENS8_IS4_EEb
		.amdhsa_group_segment_fixed_size 0
		.amdhsa_private_segment_fixed_size 0
		.amdhsa_kernarg_size 116
		.amdhsa_user_sgpr_count 2
		.amdhsa_user_sgpr_dispatch_ptr 0
		.amdhsa_user_sgpr_queue_ptr 0
		.amdhsa_user_sgpr_kernarg_segment_ptr 1
		.amdhsa_user_sgpr_dispatch_id 0
		.amdhsa_user_sgpr_kernarg_preload_length 0
		.amdhsa_user_sgpr_kernarg_preload_offset 0
		.amdhsa_user_sgpr_private_segment_size 0
		.amdhsa_uses_dynamic_stack 0
		.amdhsa_enable_private_segment 0
		.amdhsa_system_sgpr_workgroup_id_x 1
		.amdhsa_system_sgpr_workgroup_id_y 0
		.amdhsa_system_sgpr_workgroup_id_z 0
		.amdhsa_system_sgpr_workgroup_info 0
		.amdhsa_system_vgpr_workitem_id 0
		.amdhsa_next_free_vgpr 37
		.amdhsa_next_free_sgpr 68
		.amdhsa_accum_offset 40
		.amdhsa_reserve_vcc 1
		.amdhsa_float_round_mode_32 0
		.amdhsa_float_round_mode_16_64 0
		.amdhsa_float_denorm_mode_32 3
		.amdhsa_float_denorm_mode_16_64 3
		.amdhsa_dx10_clamp 1
		.amdhsa_ieee_mode 1
		.amdhsa_fp16_overflow 0
		.amdhsa_tg_split 0
		.amdhsa_exception_fp_ieee_invalid_op 0
		.amdhsa_exception_fp_denorm_src 0
		.amdhsa_exception_fp_ieee_div_zero 0
		.amdhsa_exception_fp_ieee_overflow 0
		.amdhsa_exception_fp_ieee_underflow 0
		.amdhsa_exception_fp_ieee_inexact 0
		.amdhsa_exception_int_div_zero 0
	.end_amdhsa_kernel
	.section	.text._ZN9rocsparseL15bsrilu0_generalILj128ELj64ELb0EfEEv20rocsparse_direction_iPKiS3_PT2_S3_iPiS3_S6_21rocsparse_index_base_imNS_24const_host_device_scalarIfEENS8_IdEENS8_IS4_EEb,"axG",@progbits,_ZN9rocsparseL15bsrilu0_generalILj128ELj64ELb0EfEEv20rocsparse_direction_iPKiS3_PT2_S3_iPiS3_S6_21rocsparse_index_base_imNS_24const_host_device_scalarIfEENS8_IdEENS8_IS4_EEb,comdat
.Lfunc_end6:
	.size	_ZN9rocsparseL15bsrilu0_generalILj128ELj64ELb0EfEEv20rocsparse_direction_iPKiS3_PT2_S3_iPiS3_S6_21rocsparse_index_base_imNS_24const_host_device_scalarIfEENS8_IdEENS8_IS4_EEb, .Lfunc_end6-_ZN9rocsparseL15bsrilu0_generalILj128ELj64ELb0EfEEv20rocsparse_direction_iPKiS3_PT2_S3_iPiS3_S6_21rocsparse_index_base_imNS_24const_host_device_scalarIfEENS8_IdEENS8_IS4_EEb
                                        ; -- End function
	.set _ZN9rocsparseL15bsrilu0_generalILj128ELj64ELb0EfEEv20rocsparse_direction_iPKiS3_PT2_S3_iPiS3_S6_21rocsparse_index_base_imNS_24const_host_device_scalarIfEENS8_IdEENS8_IS4_EEb.num_vgpr, 37
	.set _ZN9rocsparseL15bsrilu0_generalILj128ELj64ELb0EfEEv20rocsparse_direction_iPKiS3_PT2_S3_iPiS3_S6_21rocsparse_index_base_imNS_24const_host_device_scalarIfEENS8_IdEENS8_IS4_EEb.num_agpr, 0
	.set _ZN9rocsparseL15bsrilu0_generalILj128ELj64ELb0EfEEv20rocsparse_direction_iPKiS3_PT2_S3_iPiS3_S6_21rocsparse_index_base_imNS_24const_host_device_scalarIfEENS8_IdEENS8_IS4_EEb.numbered_sgpr, 68
	.set _ZN9rocsparseL15bsrilu0_generalILj128ELj64ELb0EfEEv20rocsparse_direction_iPKiS3_PT2_S3_iPiS3_S6_21rocsparse_index_base_imNS_24const_host_device_scalarIfEENS8_IdEENS8_IS4_EEb.num_named_barrier, 0
	.set _ZN9rocsparseL15bsrilu0_generalILj128ELj64ELb0EfEEv20rocsparse_direction_iPKiS3_PT2_S3_iPiS3_S6_21rocsparse_index_base_imNS_24const_host_device_scalarIfEENS8_IdEENS8_IS4_EEb.private_seg_size, 0
	.set _ZN9rocsparseL15bsrilu0_generalILj128ELj64ELb0EfEEv20rocsparse_direction_iPKiS3_PT2_S3_iPiS3_S6_21rocsparse_index_base_imNS_24const_host_device_scalarIfEENS8_IdEENS8_IS4_EEb.uses_vcc, 1
	.set _ZN9rocsparseL15bsrilu0_generalILj128ELj64ELb0EfEEv20rocsparse_direction_iPKiS3_PT2_S3_iPiS3_S6_21rocsparse_index_base_imNS_24const_host_device_scalarIfEENS8_IdEENS8_IS4_EEb.uses_flat_scratch, 0
	.set _ZN9rocsparseL15bsrilu0_generalILj128ELj64ELb0EfEEv20rocsparse_direction_iPKiS3_PT2_S3_iPiS3_S6_21rocsparse_index_base_imNS_24const_host_device_scalarIfEENS8_IdEENS8_IS4_EEb.has_dyn_sized_stack, 0
	.set _ZN9rocsparseL15bsrilu0_generalILj128ELj64ELb0EfEEv20rocsparse_direction_iPKiS3_PT2_S3_iPiS3_S6_21rocsparse_index_base_imNS_24const_host_device_scalarIfEENS8_IdEENS8_IS4_EEb.has_recursion, 0
	.set _ZN9rocsparseL15bsrilu0_generalILj128ELj64ELb0EfEEv20rocsparse_direction_iPKiS3_PT2_S3_iPiS3_S6_21rocsparse_index_base_imNS_24const_host_device_scalarIfEENS8_IdEENS8_IS4_EEb.has_indirect_call, 0
	.section	.AMDGPU.csdata,"",@progbits
; Kernel info:
; codeLenInByte = 3628
; TotalNumSgprs: 74
; NumVgprs: 37
; NumAgprs: 0
; TotalNumVgprs: 37
; ScratchSize: 0
; MemoryBound: 0
; FloatMode: 240
; IeeeMode: 1
; LDSByteSize: 0 bytes/workgroup (compile time only)
; SGPRBlocks: 9
; VGPRBlocks: 4
; NumSGPRsForWavesPerEU: 74
; NumVGPRsForWavesPerEU: 37
; AccumOffset: 40
; Occupancy: 8
; WaveLimiterHint : 1
; COMPUTE_PGM_RSRC2:SCRATCH_EN: 0
; COMPUTE_PGM_RSRC2:USER_SGPR: 2
; COMPUTE_PGM_RSRC2:TRAP_HANDLER: 0
; COMPUTE_PGM_RSRC2:TGID_X_EN: 1
; COMPUTE_PGM_RSRC2:TGID_Y_EN: 0
; COMPUTE_PGM_RSRC2:TGID_Z_EN: 0
; COMPUTE_PGM_RSRC2:TIDIG_COMP_CNT: 0
; COMPUTE_PGM_RSRC3_GFX90A:ACCUM_OFFSET: 9
; COMPUTE_PGM_RSRC3_GFX90A:TG_SPLIT: 0
	.section	.text._ZN9rocsparseL15bsrilu0_generalILj128ELj64ELb1EdEEv20rocsparse_direction_iPKiS3_PT2_S3_iPiS3_S6_21rocsparse_index_base_imNS_24const_host_device_scalarIfEENS8_IdEENS8_IS4_EEb,"axG",@progbits,_ZN9rocsparseL15bsrilu0_generalILj128ELj64ELb1EdEEv20rocsparse_direction_iPKiS3_PT2_S3_iPiS3_S6_21rocsparse_index_base_imNS_24const_host_device_scalarIfEENS8_IdEENS8_IS4_EEb,comdat
	.globl	_ZN9rocsparseL15bsrilu0_generalILj128ELj64ELb1EdEEv20rocsparse_direction_iPKiS3_PT2_S3_iPiS3_S6_21rocsparse_index_base_imNS_24const_host_device_scalarIfEENS8_IdEENS8_IS4_EEb ; -- Begin function _ZN9rocsparseL15bsrilu0_generalILj128ELj64ELb1EdEEv20rocsparse_direction_iPKiS3_PT2_S3_iPiS3_S6_21rocsparse_index_base_imNS_24const_host_device_scalarIfEENS8_IdEENS8_IS4_EEb
	.p2align	8
	.type	_ZN9rocsparseL15bsrilu0_generalILj128ELj64ELb1EdEEv20rocsparse_direction_iPKiS3_PT2_S3_iPiS3_S6_21rocsparse_index_base_imNS_24const_host_device_scalarIfEENS8_IdEENS8_IS4_EEb,@function
_ZN9rocsparseL15bsrilu0_generalILj128ELj64ELb1EdEEv20rocsparse_direction_iPKiS3_PT2_S3_iPiS3_S6_21rocsparse_index_base_imNS_24const_host_device_scalarIfEENS8_IdEENS8_IS4_EEb: ; @_ZN9rocsparseL15bsrilu0_generalILj128ELj64ELb1EdEEv20rocsparse_direction_iPKiS3_PT2_S3_iPiS3_S6_21rocsparse_index_base_imNS_24const_host_device_scalarIfEENS8_IdEENS8_IS4_EEb
; %bb.0:
	s_load_dword s3, s[0:1], 0x70
	s_load_dwordx2 s[14:15], s[0:1], 0x48
	s_load_dwordx8 s[24:31], s[0:1], 0x50
	s_waitcnt lgkmcnt(0)
	s_bitcmp1_b32 s3, 0
	s_cselect_b64 s[4:5], -1, 0
	s_cmp_eq_u32 s15, 0
	s_cselect_b64 s[6:7], -1, 0
	s_cmp_lg_u32 s15, 0
	s_cselect_b64 s[36:37], -1, 0
	s_or_b64 s[4:5], s[6:7], s[4:5]
	s_xor_b64 s[8:9], s[4:5], -1
	s_and_b64 s[10:11], s[6:7], exec
	s_cselect_b32 s11, 0, s29
	s_cselect_b32 s10, 0, s28
	s_and_b64 vcc, exec, s[4:5]
	s_cbranch_vccnz .LBB7_2
; %bb.1:
	s_load_dword s3, s[26:27], 0x0
	s_mov_b64 s[10:11], s[28:29]
	s_waitcnt lgkmcnt(0)
	v_mov_b32_e32 v32, s3
	s_branch .LBB7_3
.LBB7_2:
	v_mov_b32_e32 v1, s26
	v_cndmask_b32_e64 v32, v1, 0, s[6:7]
.LBB7_3:
	v_cndmask_b32_e64 v1, 0, 1, s[8:9]
	v_cmp_ne_u32_e64 s[4:5], 1, v1
	s_andn2_b64 vcc, exec, s[8:9]
	v_mov_b64_e32 v[8:9], s[10:11]
	s_cbranch_vccnz .LBB7_5
; %bb.4:
	v_mov_b64_e32 v[2:3], s[28:29]
	flat_load_dwordx2 v[8:9], v[2:3]
.LBB7_5:
	s_and_b64 s[6:7], s[6:7], exec
	s_cselect_b32 s7, 0, s31
	s_cselect_b32 s6, 0, s30
	s_and_b64 vcc, exec, s[4:5]
	v_mov_b64_e32 v[4:5], s[6:7]
	s_cbranch_vccnz .LBB7_7
; %bb.6:
	v_mov_b64_e32 v[2:3], s[30:31]
	flat_load_dwordx2 v[4:5], v[2:3]
.LBB7_7:
	s_load_dwordx2 s[34:35], s[0:1], 0x0
	s_lshl_b32 s2, s2, 1
	v_lshrrev_b32_e32 v1, 6, v0
	s_and_b32 s2, s2, 0x3fffffe
	v_or_b32_e32 v1, s2, v1
	s_waitcnt lgkmcnt(0)
	v_cmp_gt_i32_e32 vcc, s35, v1
	s_and_saveexec_b64 s[2:3], vcc
	s_cbranch_execz .LBB7_142
; %bb.8:
	s_load_dwordx4 s[28:31], s[0:1], 0x30
	s_load_dwordx2 s[26:27], s[0:1], 0x40
	v_lshlrev_b32_e32 v1, 2, v1
	s_load_dwordx8 s[16:23], s[0:1], 0x8
	v_and_b32_e32 v0, 63, v0
	s_waitcnt lgkmcnt(0)
	global_load_dword v2, v1, s[30:31]
	s_mov_b64 s[2:3], -1
	s_waitcnt vmcnt(0)
	v_ashrrev_i32_e32 v3, 31, v2
	v_lshl_add_u64 v[6:7], v[2:3], 2, s[22:23]
	global_load_dword v6, v[6:7], off
	s_waitcnt vmcnt(0)
	v_cmp_ne_u32_e32 vcc, -1, v6
	s_and_saveexec_b64 s[30:31], vcc
	s_cbranch_execz .LBB7_136
; %bb.9:
	v_lshl_add_u64 v[10:11], v[2:3], 2, s[16:17]
	global_load_dwordx2 v[10:11], v[10:11], off
	s_load_dword s15, s[0:1], 0x28
	s_mov_b64 s[8:9], 0
	s_waitcnt vmcnt(0)
	v_subrev_u32_e32 v10, s14, v10
	v_subrev_u32_e32 v1, s14, v11
	v_cmp_lt_i32_e32 vcc, v10, v6
	s_and_saveexec_b64 s[38:39], vcc
	s_cbranch_execz .LBB7_77
; %bb.10:
	s_waitcnt lgkmcnt(0)
	s_cmp_gt_i32 s15, 0
	s_cselect_b64 s[6:7], -1, 0
	v_add_u32_e32 v12, v10, v0
	v_mad_u64_u32 v[16:17], s[8:9], s15, v10, v[0:1]
	v_cndmask_b32_e64 v11, 0, 1, s[6:7]
	s_cmp_lg_u32 s34, 0
	v_ashrrev_i32_e32 v13, 31, v12
	v_mul_lo_u32 v7, s15, v16
	v_cmp_ne_u32_e64 s[6:7], 1, v11
	v_mbcnt_lo_u32_b32 v11, -1, 0
	s_cselect_b64 s[40:41], -1, 0
	v_cmp_gt_i32_e64 s[0:1], s15, v0
	v_cmp_le_i32_e64 s[2:3], s15, v0
	v_cmp_lt_i32_e64 s[4:5], v12, v1
	s_add_i32 s33, s35, 1
	v_lshl_add_u64 v[14:15], v[12:13], 2, s[18:19]
	s_mul_i32 s35, s15, s15
	s_add_i32 s60, s15, 1
	v_add_u32_e32 v13, 1, v7
	s_lshl_b32 s61, s15, 6
	s_add_i32 s62, s15, -1
	s_mov_b64 s[48:49], 0
	s_mov_b64 s[42:43], 0
	v_mbcnt_hi_u32_b32 v33, -1, v11
                                        ; implicit-def: $sgpr44_sgpr45
                                        ; implicit-def: $sgpr46_sgpr47
	s_branch .LBB7_13
.LBB7_11:                               ;   in Loop: Header=BB7_13 Depth=1
	s_or_b64 exec, exec, s[10:11]
	s_andn2_b64 s[10:11], s[46:47], exec
	s_and_b64 s[12:13], s[48:49], exec
	s_or_b64 s[46:47], s[10:11], s[12:13]
.LBB7_12:                               ;   in Loop: Header=BB7_13 Depth=1
	s_or_b64 exec, exec, s[50:51]
	v_add_u32_e32 v10, 1, v10
	v_cmp_ge_i32_e32 vcc, v10, v6
	s_xor_b64 s[8:9], s[8:9], -1
	s_or_b64 s[8:9], s[8:9], vcc
	s_and_b64 s[8:9], exec, s[8:9]
	s_or_b64 s[42:43], s[8:9], s[42:43]
	s_andn2_b64 s[8:9], s[44:45], exec
	s_and_b64 s[10:11], s[46:47], exec
	v_add_u32_e32 v13, s35, v13
	v_add_u32_e32 v7, s35, v7
	s_or_b64 s[44:45], s[8:9], s[10:11]
	s_mov_b64 s[48:49], s[46:47]
	s_andn2_b64 exec, exec, s[42:43]
	s_cbranch_execz .LBB7_76
.LBB7_13:                               ; =>This Loop Header: Depth=1
                                        ;     Child Loop BB7_17 Depth 2
                                        ;       Child Loop BB7_18 Depth 3
                                        ;     Child Loop BB7_23 Depth 2
                                        ;       Child Loop BB7_28 Depth 3
                                        ;         Child Loop BB7_37 Depth 4
                                        ;     Child Loop BB7_50 Depth 2
                                        ;       Child Loop BB7_55 Depth 3
                                        ;       Child Loop BB7_62 Depth 3
                                        ;         Child Loop BB7_64 Depth 4
                                        ;           Child Loop BB7_66 Depth 5
	v_ashrrev_i32_e32 v11, 31, v10
	v_lshl_add_u64 v[16:17], v[10:11], 2, s[18:19]
	global_load_dword v11, v[16:17], off
	s_or_b64 s[46:47], s[46:47], exec
	s_waitcnt vmcnt(0)
	v_subrev_u32_e32 v16, s14, v11
	v_ashrrev_i32_e32 v17, 31, v16
	s_waitcnt lgkmcnt(0)
	v_lshl_add_u64 v[18:19], v[16:17], 2, s[22:23]
	global_load_dword v19, v[18:19], off
	s_waitcnt vmcnt(0)
	v_cmp_ne_u32_e64 s[8:9], -1, v19
	s_and_saveexec_b64 s[50:51], s[8:9]
	s_cbranch_execz .LBB7_12
; %bb.14:                               ;   in Loop: Header=BB7_13 Depth=1
	v_lshlrev_b64 v[16:17], 2, v[16:17]
	v_lshl_add_u64 v[20:21], s[16:17], 0, v[16:17]
	v_lshl_add_u64 v[16:17], s[28:29], 0, v[16:17]
	global_load_dword v23, v[20:21], off offset:4
	global_load_dword v11, v[16:17], off sc1
	s_waitcnt vmcnt(0)
	v_cmp_eq_u32_e32 vcc, 0, v11
	s_and_saveexec_b64 s[10:11], vcc
	s_cbranch_execz .LBB7_19
; %bb.15:                               ;   in Loop: Header=BB7_13 Depth=1
	s_mov_b32 s52, 0
	s_mov_b64 s[12:13], 0
	s_branch .LBB7_17
.LBB7_16:                               ;   in Loop: Header=BB7_17 Depth=2
	global_load_dword v11, v[16:17], off sc1
	s_cmpk_lt_u32 s52, 0xf43
	s_cselect_b64 s[54:55], -1, 0
	s_cmp_lg_u64 s[54:55], 0
	s_addc_u32 s52, s52, 0
	s_waitcnt vmcnt(0)
	v_cmp_ne_u32_e32 vcc, 0, v11
	s_or_b64 s[12:13], vcc, s[12:13]
	s_andn2_b64 exec, exec, s[12:13]
	s_cbranch_execz .LBB7_19
.LBB7_17:                               ;   Parent Loop BB7_13 Depth=1
                                        ; =>  This Loop Header: Depth=2
                                        ;       Child Loop BB7_18 Depth 3
	s_cmp_eq_u32 s52, 0
	s_mov_b32 s53, s52
	s_cbranch_scc1 .LBB7_16
.LBB7_18:                               ;   Parent Loop BB7_13 Depth=1
                                        ;     Parent Loop BB7_17 Depth=2
                                        ; =>    This Inner Loop Header: Depth=3
	s_add_i32 s53, s53, -1
	s_cmp_eq_u32 s53, 0
	s_sleep 1
	s_cbranch_scc0 .LBB7_18
	s_branch .LBB7_16
.LBB7_19:                               ;   in Loop: Header=BB7_13 Depth=1
	s_or_b64 exec, exec, s[10:11]
	s_and_b64 vcc, exec, s[6:7]
	v_mul_lo_u32 v11, v10, s15
	buffer_inv sc1
	s_cbranch_vccnz .LBB7_46
; %bb.20:                               ;   in Loop: Header=BB7_13 Depth=1
	v_mad_u64_u32 v[16:17], s[10:11], s35, v19, 1
	v_mul_lo_u32 v34, v19, s15
	v_mov_b32_e32 v18, 0
	s_mov_b64 s[52:53], 0
	s_mov_b32 s63, s62
	v_mov_b32_e32 v17, v13
	s_branch .LBB7_23
.LBB7_21:                               ;   in Loop: Header=BB7_23 Depth=2
	s_or_b64 exec, exec, s[56:57]
	v_mov_b32_e32 v18, v35
.LBB7_22:                               ;   in Loop: Header=BB7_23 Depth=2
	s_or_b64 exec, exec, s[54:55]
	s_add_i32 s63, s63, -1
	v_cmp_eq_u32_e32 vcc, s15, v18
	v_add_u32_e32 v16, s60, v16
	s_or_b64 s[52:53], vcc, s[52:53]
	v_add_u32_e32 v17, 1, v17
	s_andn2_b64 exec, exec, s[52:53]
	s_cbranch_execz .LBB7_45
.LBB7_23:                               ;   Parent Loop BB7_13 Depth=1
                                        ; =>  This Loop Header: Depth=2
                                        ;       Child Loop BB7_28 Depth 3
                                        ;         Child Loop BB7_37 Depth 4
	v_add_u32_e32 v35, 1, v18
	s_and_saveexec_b64 s[10:11], s[2:3]
	s_xor_b64 s[10:11], exec, s[10:11]
; %bb.24:                               ;   in Loop: Header=BB7_23 Depth=2
	v_add_u32_e32 v18, 1, v18
                                        ; implicit-def: $vgpr35
; %bb.25:                               ;   in Loop: Header=BB7_23 Depth=2
	s_andn2_saveexec_b64 s[54:55], s[10:11]
	s_cbranch_execz .LBB7_22
; %bb.26:                               ;   in Loop: Header=BB7_23 Depth=2
	v_add_u32_e32 v20, v18, v34
	v_mad_u64_u32 v[20:21], s[10:11], v20, s15, v[18:19]
	v_ashrrev_i32_e32 v21, 31, v20
	v_lshl_add_u64 v[20:21], v[20:21], 3, s[20:21]
	global_load_dwordx2 v[20:21], v[20:21], off
	v_add_u32_e32 v22, v18, v11
	v_mul_lo_u32 v36, v22, s15
	v_cmp_gt_i32_e64 s[10:11], s15, v35
	s_mov_b64 s[56:57], 0
	v_mov_b32_e32 v37, v17
	v_mov_b32_e32 v22, v0
	s_branch .LBB7_28
.LBB7_27:                               ;   in Loop: Header=BB7_28 Depth=3
	s_or_b64 exec, exec, s[58:59]
	v_add_u32_e32 v22, 64, v22
	v_cmp_le_i32_e32 vcc, s15, v22
	s_or_b64 s[56:57], vcc, s[56:57]
	v_add_u32_e32 v37, s61, v37
	s_andn2_b64 exec, exec, s[56:57]
	s_cbranch_execz .LBB7_21
.LBB7_28:                               ;   Parent Loop BB7_13 Depth=1
                                        ;     Parent Loop BB7_23 Depth=2
                                        ; =>    This Loop Header: Depth=3
                                        ;         Child Loop BB7_37 Depth 4
	s_and_b64 vcc, exec, s[40:41]
	v_add_u32_e32 v26, v22, v36
	s_cbranch_vccz .LBB7_43
; %bb.29:                               ;   in Loop: Header=BB7_28 Depth=3
	v_add_u32_e32 v24, v22, v36
	v_add_u32_e32 v27, v22, v11
	s_cbranch_execnz .LBB7_31
.LBB7_30:                               ;   in Loop: Header=BB7_28 Depth=3
	v_mad_u64_u32 v[24:25], s[12:13], v27, s15, v[18:19]
.LBB7_31:                               ;   in Loop: Header=BB7_28 Depth=3
	v_ashrrev_i32_e32 v25, 31, v24
	v_lshl_add_u64 v[24:25], v[24:25], 3, s[20:21]
	global_load_dwordx2 v[24:25], v[24:25], off
	s_and_b64 vcc, exec, s[40:41]
	s_cbranch_vccz .LBB7_44
; %bb.32:                               ;   in Loop: Header=BB7_28 Depth=3
	s_cbranch_execnz .LBB7_34
.LBB7_33:                               ;   in Loop: Header=BB7_28 Depth=3
	v_mad_u64_u32 v[26:27], s[12:13], v27, s15, v[18:19]
.LBB7_34:                               ;   in Loop: Header=BB7_28 Depth=3
	s_waitcnt vmcnt(0)
	v_div_scale_f64 v[28:29], s[12:13], v[20:21], v[20:21], v[24:25]
	v_rcp_f64_e32 v[30:31], v[28:29]
	v_div_scale_f64 v[38:39], vcc, v[24:25], v[20:21], v[24:25]
	v_ashrrev_i32_e32 v27, 31, v26
	v_fma_f64 v[40:41], -v[28:29], v[30:31], 1.0
	v_fmac_f64_e32 v[30:31], v[30:31], v[40:41]
	v_fma_f64 v[40:41], -v[28:29], v[30:31], 1.0
	v_fmac_f64_e32 v[30:31], v[30:31], v[40:41]
	v_mul_f64 v[40:41], v[38:39], v[30:31]
	v_fma_f64 v[28:29], -v[28:29], v[40:41], v[38:39]
	v_div_fmas_f64 v[28:29], v[28:29], v[30:31], v[40:41]
	v_div_fixup_f64 v[24:25], v[28:29], v[20:21], v[24:25]
	v_lshl_add_u64 v[26:27], v[26:27], 3, s[20:21]
	global_store_dwordx2 v[26:27], v[24:25], off
	s_and_saveexec_b64 s[58:59], s[10:11]
	s_cbranch_execz .LBB7_27
; %bb.35:                               ;   in Loop: Header=BB7_28 Depth=3
	s_mov_b32 s64, s63
	v_mov_b32_e32 v38, v37
	v_mov_b32_e32 v39, v16
	;; [unrolled: 1-line block ×3, first 2 shown]
	s_branch .LBB7_37
.LBB7_36:                               ;   in Loop: Header=BB7_37 Depth=4
	v_ashrrev_i32_e32 v29, 31, v28
	s_add_i32 s64, s64, -1
	s_waitcnt vmcnt(0)
	v_fma_f64 v[26:27], -v[24:25], v[26:27], v[30:31]
	v_lshl_add_u64 v[28:29], v[28:29], 3, s[20:21]
	v_add_u32_e32 v40, 1, v40
	v_add_u32_e32 v39, 1, v39
	s_cmp_eq_u32 s64, 0
	v_add_u32_e32 v38, 1, v38
	global_store_dwordx2 v[28:29], v[26:27], off
	s_cbranch_scc1 .LBB7_27
.LBB7_37:                               ;   Parent Loop BB7_13 Depth=1
                                        ;     Parent Loop BB7_23 Depth=2
                                        ;       Parent Loop BB7_28 Depth=3
                                        ; =>      This Inner Loop Header: Depth=4
	v_cndmask_b32_e64 v26, 0, 1, s[40:41]
	v_cmp_ne_u32_e64 s[12:13], 1, v26
	s_andn2_b64 vcc, exec, s[40:41]
	v_mov_b32_e32 v26, v39
	s_cbranch_vccnz .LBB7_39
; %bb.38:                               ;   in Loop: Header=BB7_37 Depth=4
	v_add_u32_e32 v26, v40, v34
	v_mad_u64_u32 v[26:27], s[66:67], v26, s15, v[18:19]
.LBB7_39:                               ;   in Loop: Header=BB7_37 Depth=4
	v_ashrrev_i32_e32 v27, 31, v26
	v_lshl_add_u64 v[26:27], v[26:27], 3, s[20:21]
	global_load_dwordx2 v[26:27], v[26:27], off
	s_and_b64 vcc, exec, s[12:13]
	v_add_u32_e32 v41, v40, v11
	v_mov_b32_e32 v28, v38
	s_cbranch_vccnz .LBB7_41
; %bb.40:                               ;   in Loop: Header=BB7_37 Depth=4
	v_mad_u64_u32 v[28:29], s[66:67], v41, s15, v[22:23]
.LBB7_41:                               ;   in Loop: Header=BB7_37 Depth=4
	v_ashrrev_i32_e32 v29, 31, v28
	v_lshl_add_u64 v[28:29], v[28:29], 3, s[20:21]
	global_load_dwordx2 v[30:31], v[28:29], off
	s_and_b64 vcc, exec, s[12:13]
	v_mov_b32_e32 v28, v38
	s_cbranch_vccnz .LBB7_36
; %bb.42:                               ;   in Loop: Header=BB7_37 Depth=4
	v_mad_u64_u32 v[28:29], s[12:13], v41, s15, v[22:23]
	s_branch .LBB7_36
.LBB7_43:                               ;   in Loop: Header=BB7_28 Depth=3
                                        ; implicit-def: $vgpr24
	v_add_u32_e32 v27, v22, v11
	s_branch .LBB7_30
.LBB7_44:                               ;   in Loop: Header=BB7_28 Depth=3
                                        ; implicit-def: $vgpr26
	s_branch .LBB7_33
.LBB7_45:                               ;   in Loop: Header=BB7_13 Depth=1
	s_or_b64 exec, exec, s[52:53]
.LBB7_46:                               ;   in Loop: Header=BB7_13 Depth=1
	v_subrev_u32_e32 v26, s14, v23
	v_add_u32_e32 v16, 1, v19
	v_cmp_lt_i32_e32 vcc, v16, v26
	s_and_saveexec_b64 s[10:11], vcc
	s_cbranch_execz .LBB7_11
; %bb.47:                               ;   in Loop: Header=BB7_13 Depth=1
	v_mul_lo_u32 v27, s35, v16
	s_mov_b64 s[12:13], 0
	s_branch .LBB7_50
.LBB7_48:                               ;   in Loop: Header=BB7_50 Depth=2
	s_or_b64 exec, exec, s[52:53]
.LBB7_49:                               ;   in Loop: Header=BB7_50 Depth=2
	v_add_u32_e32 v16, 1, v16
	v_cmp_ge_i32_e32 vcc, v16, v26
	s_or_b64 s[12:13], vcc, s[12:13]
	v_add_u32_e32 v27, s35, v27
	s_andn2_b64 exec, exec, s[12:13]
	s_cbranch_execz .LBB7_11
.LBB7_50:                               ;   Parent Loop BB7_13 Depth=1
                                        ; =>  This Loop Header: Depth=2
                                        ;       Child Loop BB7_55 Depth 3
                                        ;       Child Loop BB7_62 Depth 3
                                        ;         Child Loop BB7_64 Depth 4
                                        ;           Child Loop BB7_66 Depth 5
	v_ashrrev_i32_e32 v17, 31, v16
	s_waitcnt lgkmcnt(0)
	v_lshl_add_u64 v[18:19], v[16:17], 2, s[18:19]
	global_load_dword v17, v[18:19], off
	v_mov_b32_e32 v19, s33
	s_and_saveexec_b64 s[52:53], s[4:5]
	s_cbranch_execz .LBB7_52
; %bb.51:                               ;   in Loop: Header=BB7_50 Depth=2
	global_load_dword v18, v[14:15], off
	s_waitcnt vmcnt(0)
	v_subrev_u32_e32 v19, s14, v18
.LBB7_52:                               ;   in Loop: Header=BB7_50 Depth=2
	s_or_b64 exec, exec, s[52:53]
	s_waitcnt vmcnt(0)
	v_subrev_u32_e32 v17, s14, v17
	v_cmp_lt_i32_e32 vcc, v19, v17
	v_mov_b32_e32 v20, v12
	s_and_saveexec_b64 s[52:53], vcc
	s_cbranch_execz .LBB7_58
; %bb.53:                               ;   in Loop: Header=BB7_50 Depth=2
	s_mov_b64 s[54:55], 0
	v_mov_b32_e32 v18, v12
	s_branch .LBB7_55
.LBB7_54:                               ;   in Loop: Header=BB7_55 Depth=3
	s_or_b64 exec, exec, s[56:57]
	v_cmp_ge_i32_e32 vcc, v19, v17
	s_or_b64 s[54:55], vcc, s[54:55]
	v_mov_b32_e32 v18, v20
	s_andn2_b64 exec, exec, s[54:55]
	s_cbranch_execz .LBB7_57
.LBB7_55:                               ;   Parent Loop BB7_13 Depth=1
                                        ;     Parent Loop BB7_50 Depth=2
                                        ; =>    This Inner Loop Header: Depth=3
	v_add_u32_e32 v20, 64, v18
	v_cmp_lt_i32_e32 vcc, v20, v1
	v_mov_b32_e32 v19, s33
	s_and_saveexec_b64 s[56:57], vcc
	s_cbranch_execz .LBB7_54
; %bb.56:                               ;   in Loop: Header=BB7_55 Depth=3
	v_ashrrev_i32_e32 v19, 31, v18
	v_lshl_add_u64 v[18:19], v[18:19], 2, s[18:19]
	global_load_dword v18, v[18:19], off offset:256
	s_waitcnt vmcnt(0)
	v_subrev_u32_e32 v19, s14, v18
	s_branch .LBB7_54
.LBB7_57:                               ;   in Loop: Header=BB7_50 Depth=2
	s_or_b64 exec, exec, s[54:55]
.LBB7_58:                               ;   in Loop: Header=BB7_50 Depth=2
	s_or_b64 exec, exec, s[52:53]
	v_cmp_eq_u32_e32 vcc, v19, v17
	s_cbranch_vccz .LBB7_49
; %bb.59:                               ;   in Loop: Header=BB7_50 Depth=2
	s_ff1_i32_b64 s52, vcc
	v_and_or_b32 v17, v33, 64, s52
	v_lshlrev_b32_e32 v17, 2, v17
	ds_bpermute_b32 v18, v17, v20
	s_and_saveexec_b64 s[52:53], s[0:1]
	s_cbranch_execz .LBB7_48
; %bb.60:                               ;   in Loop: Header=BB7_50 Depth=2
	v_mul_lo_u32 v17, v16, s15
	s_waitcnt lgkmcnt(0)
	v_mul_lo_u32 v19, v18, s15
	s_mov_b64 s[54:55], 0
	v_mov_b32_e32 v28, v7
	v_mov_b32_e32 v18, v0
	s_branch .LBB7_62
.LBB7_61:                               ;   in Loop: Header=BB7_62 Depth=3
	v_add_u32_e32 v18, 64, v18
	v_cmp_le_i32_e32 vcc, s15, v18
	s_or_b64 s[54:55], vcc, s[54:55]
	v_add_u32_e32 v28, s61, v28
	s_andn2_b64 exec, exec, s[54:55]
	s_cbranch_execz .LBB7_48
.LBB7_62:                               ;   Parent Loop BB7_13 Depth=1
                                        ;     Parent Loop BB7_50 Depth=2
                                        ; =>    This Loop Header: Depth=3
                                        ;         Child Loop BB7_64 Depth 4
                                        ;           Child Loop BB7_66 Depth 5
	v_add_u32_e32 v20, v18, v19
	v_mul_lo_u32 v29, v20, s15
	s_mov_b32 s58, 0
	v_mov_b32_e32 v30, v27
	s_branch .LBB7_64
.LBB7_63:                               ;   in Loop: Header=BB7_64 Depth=4
	v_ashrrev_i32_e32 v23, 31, v22
	v_lshl_add_u64 v[22:23], v[22:23], 3, s[20:21]
	global_load_dwordx2 v[24:25], v[22:23], off
	s_add_i32 s58, s58, 1
	s_cmp_eq_u32 s58, s15
	v_add_u32_e32 v30, 1, v30
	s_waitcnt vmcnt(0)
	v_add_f64 v[20:21], v[24:25], -v[20:21]
	global_store_dwordx2 v[22:23], v[20:21], off
	s_cbranch_scc1 .LBB7_61
.LBB7_64:                               ;   Parent Loop BB7_13 Depth=1
                                        ;     Parent Loop BB7_50 Depth=2
                                        ;       Parent Loop BB7_62 Depth=3
                                        ; =>      This Loop Header: Depth=4
                                        ;           Child Loop BB7_66 Depth 5
	v_add_u32_e32 v20, s58, v17
	v_mul_lo_u32 v31, v20, s15
	v_mov_b64_e32 v[20:21], 0
	v_mov_b32_e32 v34, v30
	s_mov_b32 s59, 0
	s_branch .LBB7_66
.LBB7_65:                               ;   in Loop: Header=BB7_66 Depth=5
	v_ashrrev_i32_e32 v25, 31, v24
	v_lshl_add_u64 v[24:25], v[24:25], 3, s[20:21]
	global_load_dwordx2 v[24:25], v[24:25], off
	s_add_i32 s59, s59, 1
	s_cmp_eq_u32 s15, s59
	v_add_u32_e32 v34, s15, v34
	s_waitcnt vmcnt(0)
	v_fmac_f64_e32 v[20:21], v[22:23], v[24:25]
	s_cbranch_scc1 .LBB7_72
.LBB7_66:                               ;   Parent Loop BB7_13 Depth=1
                                        ;     Parent Loop BB7_50 Depth=2
                                        ;       Parent Loop BB7_62 Depth=3
                                        ;         Parent Loop BB7_64 Depth=4
                                        ; =>        This Inner Loop Header: Depth=5
	s_and_b64 vcc, exec, s[40:41]
	s_cbranch_vccz .LBB7_71
; %bb.67:                               ;   in Loop: Header=BB7_66 Depth=5
	v_add_u32_e32 v22, s59, v11
	v_mad_u64_u32 v[22:23], s[56:57], v22, s15, v[18:19]
	s_cbranch_execnz .LBB7_69
.LBB7_68:                               ;   in Loop: Header=BB7_66 Depth=5
	v_add_u32_e32 v22, s59, v28
.LBB7_69:                               ;   in Loop: Header=BB7_66 Depth=5
	v_ashrrev_i32_e32 v23, 31, v22
	v_lshl_add_u64 v[22:23], v[22:23], 3, s[20:21]
	global_load_dwordx2 v[22:23], v[22:23], off
	s_andn2_b64 vcc, exec, s[40:41]
	v_mov_b32_e32 v24, v34
	s_cbranch_vccnz .LBB7_65
; %bb.70:                               ;   in Loop: Header=BB7_66 Depth=5
	v_add_u32_e32 v24, s59, v31
	s_branch .LBB7_65
.LBB7_71:                               ;   in Loop: Header=BB7_66 Depth=5
                                        ; implicit-def: $vgpr22
	s_branch .LBB7_68
.LBB7_72:                               ;   in Loop: Header=BB7_64 Depth=4
	s_and_b64 vcc, exec, s[40:41]
	s_cbranch_vccz .LBB7_74
; %bb.73:                               ;   in Loop: Header=BB7_64 Depth=4
	v_add_u32_e32 v22, s58, v19
	v_mad_u64_u32 v[22:23], s[56:57], v22, s15, v[18:19]
	s_cbranch_execnz .LBB7_63
	s_branch .LBB7_75
.LBB7_74:                               ;   in Loop: Header=BB7_64 Depth=4
                                        ; implicit-def: $vgpr22
.LBB7_75:                               ;   in Loop: Header=BB7_64 Depth=4
	v_add_u32_e32 v22, s58, v29
	s_branch .LBB7_63
.LBB7_76:
	s_or_b64 exec, exec, s[42:43]
	s_and_b64 s[8:9], s[44:45], exec
.LBB7_77:
	s_or_b64 exec, exec, s[38:39]
	v_ashrrev_i32_e32 v7, 31, v6
	v_lshl_add_u64 v[10:11], v[6:7], 2, s[18:19]
	global_load_dword v7, v[10:11], off
	s_waitcnt lgkmcnt(0)
	s_cmp_gt_i32 s15, 0
	s_cselect_b64 s[10:11], -1, 0
	s_waitcnt vmcnt(0)
	v_subrev_u32_e32 v7, s14, v7
	v_cmp_eq_u32_e32 vcc, v7, v2
	s_and_b64 s[0:1], s[10:11], vcc
	s_and_saveexec_b64 s[12:13], s[0:1]
	s_cbranch_execz .LBB7_111
; %bb.78:
	s_cmp_eq_u64 s[24:25], 8
	v_cvt_f64_f32_e32 v[10:11], v32
	s_cselect_b64 vcc, -1, 0
	s_mul_i32 s2, s15, s15
	v_cndmask_b32_e32 v9, v11, v9, vcc
	v_cndmask_b32_e32 v8, v10, v8, vcc
	v_mul_lo_u32 v7, v6, s15
	v_mad_u64_u32 v[10:11], s[2:3], v6, s2, 1
	s_cmp_lg_u32 s34, 0
	v_add_u32_e32 v11, v7, v0
	s_cselect_b64 s[16:17], -1, 0
	s_add_i32 s33, s15, 1
	v_mul_lo_u32 v11, s15, v11
	v_cndmask_b32_e64 v13, 0, 1, s[36:37]
	v_cmp_eq_u32_e64 s[0:1], 0, v0
	v_add_u32_e32 v11, s33, v11
	s_lshl_b32 s35, s15, 6
	s_add_i32 s46, s15, -1
	v_mov_b32_e32 v12, 0
	s_mov_b64 s[18:19], 0
	v_cmp_ne_u32_e64 s[2:3], 1, v13
	s_mov_b64 s[24:25], s[8:9]
                                        ; implicit-def: $sgpr22_sgpr23
	s_branch .LBB7_80
.LBB7_79:                               ;   in Loop: Header=BB7_80 Depth=1
	s_or_b64 exec, exec, s[4:5]
	s_add_i32 s46, s46, -1
	v_cmp_eq_u32_e32 vcc, s15, v17
	s_or_b64 s[18:19], vcc, s[18:19]
	s_andn2_b64 s[4:5], s[22:23], exec
	s_and_b64 s[6:7], s[24:25], exec
	v_add_u32_e32 v10, s33, v10
	v_add_u32_e32 v11, s33, v11
	s_or_b64 s[22:23], s[4:5], s[6:7]
	v_mov_b32_e32 v12, v17
	s_andn2_b64 exec, exec, s[18:19]
	s_cbranch_execz .LBB7_110
.LBB7_80:                               ; =>This Loop Header: Depth=1
                                        ;     Child Loop BB7_90 Depth 2
                                        ;       Child Loop BB7_99 Depth 3
	v_add_u32_e32 v13, v12, v7
	v_mul_lo_u32 v13, v13, s15
	v_add_u32_e32 v14, v13, v12
	v_ashrrev_i32_e32 v15, 31, v14
	v_lshl_add_u64 v[18:19], v[14:15], 3, s[20:21]
	global_load_dwordx2 v[14:15], v[18:19], off
	s_mov_b64 s[6:7], -1
	s_and_b64 vcc, exec, s[2:3]
	s_mov_b64 s[4:5], 0
                                        ; implicit-def: $vgpr16_vgpr17
	s_cbranch_vccnz .LBB7_84
; %bb.81:                               ;   in Loop: Header=BB7_80 Depth=1
	s_waitcnt vmcnt(0)
	v_cmp_ge_f64_e64 vcc, v[8:9], |v[14:15]|
	s_nop 1
	v_cndmask_b32_e32 v17, v15, v5, vcc
	v_cndmask_b32_e32 v16, v14, v4, vcc
	s_and_saveexec_b64 s[4:5], s[0:1]
	s_cbranch_execz .LBB7_83
; %bb.82:                               ;   in Loop: Header=BB7_80 Depth=1
	global_store_dwordx2 v[18:19], v[16:17], off
.LBB7_83:                               ;   in Loop: Header=BB7_80 Depth=1
	s_or_b64 exec, exec, s[4:5]
	s_mov_b64 s[6:7], 0
	s_mov_b64 s[4:5], -1
.LBB7_84:                               ;   in Loop: Header=BB7_80 Depth=1
	s_andn2_b64 vcc, exec, s[6:7]
	s_mov_b64 s[36:37], 0
	s_cbranch_vccnz .LBB7_86
; %bb.85:                               ;   in Loop: Header=BB7_80 Depth=1
	s_waitcnt vmcnt(0)
	v_cmp_neq_f64_e32 vcc, 0, v[14:15]
	s_andn2_b64 s[4:5], s[4:5], exec
	s_and_b64 s[6:7], vcc, exec
	s_mov_b64 s[36:37], -1
	s_or_b64 s[4:5], s[4:5], s[6:7]
                                        ; implicit-def: $vgpr17
	s_and_saveexec_b64 s[6:7], s[4:5]
	s_xor_b64 s[38:39], exec, s[6:7]
	s_cbranch_execnz .LBB7_87
	s_branch .LBB7_108
.LBB7_86:                               ;   in Loop: Header=BB7_80 Depth=1
	s_waitcnt vmcnt(0)
	v_mov_b64_e32 v[14:15], v[16:17]
                                        ; implicit-def: $vgpr17
	s_and_saveexec_b64 s[6:7], s[4:5]
	s_xor_b64 s[38:39], exec, s[6:7]
	s_cbranch_execz .LBB7_108
.LBB7_87:                               ;   in Loop: Header=BB7_80 Depth=1
	v_add_u32_e32 v17, 1, v12
	v_add_u32_e32 v16, v17, v0
	v_cmp_gt_i32_e32 vcc, s15, v16
	s_and_saveexec_b64 s[40:41], vcc
	s_cbranch_execz .LBB7_107
; %bb.88:                               ;   in Loop: Header=BB7_80 Depth=1
	v_cmp_gt_i32_e64 s[4:5], s15, v17
	s_mov_b64 s[42:43], 0
	v_mov_b32_e32 v26, v11
	s_branch .LBB7_90
.LBB7_89:                               ;   in Loop: Header=BB7_90 Depth=2
	s_or_b64 exec, exec, s[44:45]
	v_add_u32_e32 v16, 64, v16
	v_cmp_le_i32_e32 vcc, s15, v16
	s_or_b64 s[42:43], vcc, s[42:43]
	v_add_u32_e32 v26, s35, v26
	s_andn2_b64 exec, exec, s[42:43]
	s_cbranch_execz .LBB7_107
.LBB7_90:                               ;   Parent Loop BB7_80 Depth=1
                                        ; =>  This Loop Header: Depth=2
                                        ;       Child Loop BB7_99 Depth 3
	s_and_b64 vcc, exec, s[16:17]
	v_add_u32_e32 v20, v16, v13
	s_cbranch_vccz .LBB7_105
; %bb.91:                               ;   in Loop: Header=BB7_90 Depth=2
	v_add_u32_e32 v18, v16, v13
	s_cbranch_execnz .LBB7_93
.LBB7_92:                               ;   in Loop: Header=BB7_90 Depth=2
	v_add_u32_e32 v18, v16, v7
	v_mad_u64_u32 v[18:19], s[6:7], v18, s15, v[12:13]
.LBB7_93:                               ;   in Loop: Header=BB7_90 Depth=2
	v_ashrrev_i32_e32 v19, 31, v18
	v_lshl_add_u64 v[18:19], v[18:19], 3, s[20:21]
	global_load_dwordx2 v[18:19], v[18:19], off
	s_and_b64 vcc, exec, s[16:17]
	s_cbranch_vccz .LBB7_106
; %bb.94:                               ;   in Loop: Header=BB7_90 Depth=2
	s_cbranch_execnz .LBB7_96
.LBB7_95:                               ;   in Loop: Header=BB7_90 Depth=2
	v_add_u32_e32 v20, v16, v7
	v_mad_u64_u32 v[20:21], s[6:7], v20, s15, v[12:13]
.LBB7_96:                               ;   in Loop: Header=BB7_90 Depth=2
	s_waitcnt vmcnt(0)
	v_div_scale_f64 v[22:23], s[6:7], v[14:15], v[14:15], v[18:19]
	v_rcp_f64_e32 v[24:25], v[22:23]
	v_div_scale_f64 v[28:29], vcc, v[18:19], v[14:15], v[18:19]
	v_ashrrev_i32_e32 v21, 31, v20
	v_fma_f64 v[30:31], -v[22:23], v[24:25], 1.0
	v_fmac_f64_e32 v[24:25], v[24:25], v[30:31]
	v_fma_f64 v[30:31], -v[22:23], v[24:25], 1.0
	v_fmac_f64_e32 v[24:25], v[24:25], v[30:31]
	v_mul_f64 v[30:31], v[28:29], v[24:25]
	v_fma_f64 v[22:23], -v[22:23], v[30:31], v[28:29]
	v_div_fmas_f64 v[22:23], v[22:23], v[24:25], v[30:31]
	v_div_fixup_f64 v[18:19], v[22:23], v[14:15], v[18:19]
	v_lshl_add_u64 v[20:21], v[20:21], 3, s[20:21]
	global_store_dwordx2 v[20:21], v[18:19], off
	s_and_saveexec_b64 s[44:45], s[4:5]
	s_cbranch_execz .LBB7_89
; %bb.97:                               ;   in Loop: Header=BB7_90 Depth=2
	s_mov_b32 s47, s46
	v_mov_b32_e32 v27, v26
	v_mov_b32_e32 v28, v10
	;; [unrolled: 1-line block ×3, first 2 shown]
	s_branch .LBB7_99
.LBB7_98:                               ;   in Loop: Header=BB7_99 Depth=3
	v_ashrrev_i32_e32 v23, 31, v22
	s_add_i32 s47, s47, -1
	s_waitcnt vmcnt(0)
	v_fma_f64 v[20:21], -v[18:19], v[20:21], v[24:25]
	v_lshl_add_u64 v[22:23], v[22:23], 3, s[20:21]
	v_add_u32_e32 v29, 1, v29
	v_add_u32_e32 v28, 1, v28
	s_cmp_eq_u32 s47, 0
	v_add_u32_e32 v27, 1, v27
	global_store_dwordx2 v[22:23], v[20:21], off
	s_cbranch_scc1 .LBB7_89
.LBB7_99:                               ;   Parent Loop BB7_80 Depth=1
                                        ;     Parent Loop BB7_90 Depth=2
                                        ; =>    This Inner Loop Header: Depth=3
	v_cndmask_b32_e64 v20, 0, 1, s[16:17]
	v_cmp_ne_u32_e64 s[6:7], 1, v20
	s_andn2_b64 vcc, exec, s[16:17]
	v_add_u32_e32 v30, v29, v7
	v_mov_b32_e32 v20, v28
	s_cbranch_vccnz .LBB7_101
; %bb.100:                              ;   in Loop: Header=BB7_99 Depth=3
	v_mad_u64_u32 v[20:21], s[48:49], v30, s15, v[12:13]
.LBB7_101:                              ;   in Loop: Header=BB7_99 Depth=3
	v_ashrrev_i32_e32 v21, 31, v20
	v_lshl_add_u64 v[20:21], v[20:21], 3, s[20:21]
	global_load_dwordx2 v[20:21], v[20:21], off
	s_and_b64 vcc, exec, s[6:7]
	v_mov_b32_e32 v22, v27
	s_cbranch_vccnz .LBB7_103
; %bb.102:                              ;   in Loop: Header=BB7_99 Depth=3
	v_mad_u64_u32 v[22:23], s[48:49], v30, s15, v[16:17]
.LBB7_103:                              ;   in Loop: Header=BB7_99 Depth=3
	v_ashrrev_i32_e32 v23, 31, v22
	v_lshl_add_u64 v[22:23], v[22:23], 3, s[20:21]
	global_load_dwordx2 v[24:25], v[22:23], off
	s_and_b64 vcc, exec, s[6:7]
	v_mov_b32_e32 v22, v27
	s_cbranch_vccnz .LBB7_98
; %bb.104:                              ;   in Loop: Header=BB7_99 Depth=3
	v_mad_u64_u32 v[22:23], s[6:7], v30, s15, v[16:17]
	s_branch .LBB7_98
.LBB7_105:                              ;   in Loop: Header=BB7_90 Depth=2
                                        ; implicit-def: $vgpr18
	s_branch .LBB7_92
.LBB7_106:                              ;   in Loop: Header=BB7_90 Depth=2
                                        ; implicit-def: $vgpr20
	s_branch .LBB7_95
.LBB7_107:                              ;   in Loop: Header=BB7_80 Depth=1
	s_or_b64 exec, exec, s[40:41]
	s_andn2_b64 s[36:37], s[36:37], exec
.LBB7_108:                              ;   in Loop: Header=BB7_80 Depth=1
	s_or_b64 exec, exec, s[38:39]
	s_andn2_b64 s[4:5], s[24:25], exec
	s_and_b64 s[6:7], s[24:25], exec
	s_or_b64 s[24:25], s[4:5], s[6:7]
	s_and_saveexec_b64 s[4:5], s[36:37]
	s_cbranch_execz .LBB7_79
; %bb.109:                              ;   in Loop: Header=BB7_80 Depth=1
	v_add_u32_e32 v17, 1, v12
	s_or_b64 s[24:25], s[24:25], exec
	s_branch .LBB7_79
.LBB7_110:
	s_or_b64 exec, exec, s[18:19]
	s_andn2_b64 s[0:1], s[8:9], exec
	s_and_b64 s[2:3], s[22:23], exec
	s_or_b64 s[8:9], s[0:1], s[2:3]
.LBB7_111:
	s_or_b64 exec, exec, s[12:13]
	v_add_u32_e32 v12, 1, v6
	v_cmp_lt_i32_e32 vcc, v12, v1
	s_and_saveexec_b64 s[6:7], vcc
	s_cbranch_execz .LBB7_135
; %bb.112:
	v_mul_lo_u32 v13, v6, s15
	v_mul_lo_u32 v4, s15, v13
	s_mul_i32 s25, s15, s15
	v_add_u32_e32 v14, s15, v4
	v_mul_lo_u32 v4, s25, v12
	s_cmp_lg_u32 s34, 0
	v_add3_u32 v15, v4, s15, v0
	v_cndmask_b32_e64 v4, 0, 1, s[10:11]
	v_cmp_gt_i32_e64 s[0:1], s15, v0
	s_cselect_b64 s[12:13], -1, 0
	s_add_i32 s24, s15, 1
	s_add_i32 s33, s15, -1
	s_mov_b64 s[16:17], 0
	v_cmp_ne_u32_e64 s[2:3], 1, v4
	s_branch .LBB7_114
.LBB7_113:                              ;   in Loop: Header=BB7_114 Depth=1
	v_add_u32_e32 v12, 1, v12
	v_cmp_ge_i32_e32 vcc, v12, v1
	s_or_b64 s[16:17], vcc, s[16:17]
	v_add_u32_e32 v15, s25, v15
	s_andn2_b64 exec, exec, s[16:17]
	s_cbranch_execz .LBB7_135
.LBB7_114:                              ; =>This Loop Header: Depth=1
                                        ;     Child Loop BB7_117 Depth 2
                                        ;       Child Loop BB7_120 Depth 3
                                        ;         Child Loop BB7_123 Depth 4
	s_and_b64 vcc, exec, s[2:3]
	s_cbranch_vccnz .LBB7_113
; %bb.115:                              ;   in Loop: Header=BB7_114 Depth=1
	v_mul_lo_u32 v16, v12, s15
	s_mov_b32 s35, 0
	s_mov_b32 s34, s33
	v_mov_b32_e32 v17, v15
	v_mov_b32_e32 v18, v14
	s_branch .LBB7_117
.LBB7_116:                              ;   in Loop: Header=BB7_117 Depth=2
	s_or_b64 exec, exec, s[10:11]
	s_add_i32 s34, s34, -1
	v_add_u32_e32 v18, s24, v18
	v_add_u32_e32 v17, s15, v17
	s_cmp_eq_u32 s36, s15
	s_mov_b32 s35, s36
	s_cbranch_scc1 .LBB7_113
.LBB7_117:                              ;   Parent Loop BB7_114 Depth=1
                                        ; =>  This Loop Header: Depth=2
                                        ;       Child Loop BB7_120 Depth 3
                                        ;         Child Loop BB7_123 Depth 4
	s_add_i32 s36, s35, 1
	s_and_saveexec_b64 s[10:11], s[0:1]
	s_cbranch_execz .LBB7_116
; %bb.118:                              ;   in Loop: Header=BB7_117 Depth=2
	s_cmp_lt_i32 s36, s15
	v_add_u32_e32 v4, s35, v13
	v_mul_lo_u32 v19, v4, s15
	v_add_u32_e32 v4, s35, v16
	s_cselect_b64 s[4:5], -1, 0
	v_mul_lo_u32 v20, v4, s15
	v_cndmask_b32_e64 v4, 0, 1, s[4:5]
	s_mov_b64 s[18:19], 0
	v_cmp_ne_u32_e64 s[4:5], 1, v4
	v_mov_b32_e32 v21, v17
	v_mov_b32_e32 v22, v0
	s_branch .LBB7_120
.LBB7_119:                              ;   in Loop: Header=BB7_120 Depth=3
	v_add_u32_e32 v22, 64, v22
	v_cmp_le_i32_e32 vcc, s15, v22
	s_or_b64 s[18:19], vcc, s[18:19]
	v_add_u32_e32 v21, 64, v21
	s_andn2_b64 exec, exec, s[18:19]
	s_cbranch_execz .LBB7_116
.LBB7_120:                              ;   Parent Loop BB7_114 Depth=1
                                        ;     Parent Loop BB7_117 Depth=2
                                        ; =>    This Loop Header: Depth=3
                                        ;         Child Loop BB7_123 Depth 4
	s_and_b64 vcc, exec, s[4:5]
	s_cbranch_vccnz .LBB7_119
; %bb.121:                              ;   in Loop: Header=BB7_120 Depth=3
	v_add_u32_e32 v4, v22, v16
	v_mul_lo_u32 v23, v4, s15
	v_add_u32_e32 v24, s35, v23
	v_add_u32_e32 v25, v22, v20
	s_mov_b32 s37, 0
	s_mov_b32 s38, s34
	s_mov_b32 s39, s36
	s_branch .LBB7_123
.LBB7_122:                              ;   in Loop: Header=BB7_123 Depth=4
	v_ashrrev_i32_e32 v9, 31, v8
	s_add_i32 s39, s39, 1
	s_add_i32 s37, s37, s15
	s_add_i32 s38, s38, -1
	s_waitcnt vmcnt(0)
	v_fma_f64 v[4:5], -v[4:5], v[6:7], v[10:11]
	v_lshl_add_u64 v[6:7], v[8:9], 3, s[20:21]
	s_cmp_eq_u32 s38, 0
	global_store_dwordx2 v[6:7], v[4:5], off
	s_cbranch_scc1 .LBB7_119
.LBB7_123:                              ;   Parent Loop BB7_114 Depth=1
                                        ;     Parent Loop BB7_117 Depth=2
                                        ;       Parent Loop BB7_120 Depth=3
                                        ; =>      This Inner Loop Header: Depth=4
	s_and_b64 vcc, exec, s[12:13]
	s_cbranch_vccz .LBB7_131
; %bb.124:                              ;   in Loop: Header=BB7_123 Depth=4
	v_add_u32_e32 v4, s39, v19
	v_mov_b32_e32 v6, v24
	s_cbranch_execnz .LBB7_126
.LBB7_125:                              ;   in Loop: Header=BB7_123 Depth=4
	v_add_u32_e32 v4, s37, v18
	v_mov_b32_e32 v6, v25
.LBB7_126:                              ;   in Loop: Header=BB7_123 Depth=4
	v_ashrrev_i32_e32 v5, 31, v4
	v_lshl_add_u64 v[8:9], v[4:5], 3, s[20:21]
	v_ashrrev_i32_e32 v7, 31, v6
	v_lshl_add_u64 v[10:11], v[6:7], 3, s[20:21]
	global_load_dwordx2 v[4:5], v[8:9], off
	global_load_dwordx2 v[6:7], v[10:11], off
	s_and_b64 vcc, exec, s[12:13]
	v_add_u32_e32 v8, s39, v23
	s_cbranch_vccz .LBB7_132
; %bb.127:                              ;   in Loop: Header=BB7_123 Depth=4
	v_add_u32_e32 v10, s39, v23
	v_add_u32_e32 v9, s37, v21
	s_cbranch_execnz .LBB7_129
.LBB7_128:                              ;   in Loop: Header=BB7_123 Depth=4
	v_add_u32_e32 v10, s37, v21
.LBB7_129:                              ;   in Loop: Header=BB7_123 Depth=4
	v_ashrrev_i32_e32 v11, 31, v10
	v_lshl_add_u64 v[10:11], v[10:11], 3, s[20:21]
	global_load_dwordx2 v[10:11], v[10:11], off
	s_and_b64 vcc, exec, s[12:13]
	s_cbranch_vccz .LBB7_133
; %bb.130:                              ;   in Loop: Header=BB7_123 Depth=4
	s_cbranch_execnz .LBB7_122
	s_branch .LBB7_134
.LBB7_131:                              ;   in Loop: Header=BB7_123 Depth=4
                                        ; implicit-def: $vgpr4
	v_mov_b32_e32 v6, v24
	s_branch .LBB7_125
.LBB7_132:                              ;   in Loop: Header=BB7_123 Depth=4
                                        ; implicit-def: $vgpr10
	v_add_u32_e32 v9, s37, v21
	s_branch .LBB7_128
.LBB7_133:                              ;   in Loop: Header=BB7_123 Depth=4
                                        ; implicit-def: $vgpr8
.LBB7_134:                              ;   in Loop: Header=BB7_123 Depth=4
	v_mov_b32_e32 v8, v9
	s_branch .LBB7_122
.LBB7_135:
	s_or_b64 exec, exec, s[6:7]
	s_orn2_b64 s[2:3], s[8:9], exec
.LBB7_136:
	s_or_b64 exec, exec, s[30:31]
	v_cmp_eq_u32_e32 vcc, 0, v0
	s_and_b64 exec, exec, vcc
	s_cbranch_execz .LBB7_142
; %bb.137:
	v_lshl_add_u64 v[0:1], v[2:3], 2, s[28:29]
	v_mov_b32_e32 v3, 1
	buffer_wbl2 sc1
	s_waitcnt vmcnt(0)
	global_store_dword v[0:1], v3, off sc1
	s_and_b64 exec, exec, s[2:3]
	s_cbranch_execz .LBB7_142
; %bb.138:
	s_mov_b64 s[0:1], exec
	v_add_u32_e32 v0, s14, v2
	s_brev_b32 s2, -2
.LBB7_139:                              ; =>This Inner Loop Header: Depth=1
	s_ff1_i32_b64 s3, s[0:1]
	v_readlane_b32 s6, v0, s3
	s_lshl_b64 s[4:5], 1, s3
	s_min_i32 s2, s2, s6
	s_andn2_b64 s[0:1], s[0:1], s[4:5]
	s_cmp_lg_u64 s[0:1], 0
	s_cbranch_scc1 .LBB7_139
; %bb.140:
	v_mbcnt_lo_u32_b32 v0, exec_lo, 0
	v_mbcnt_hi_u32_b32 v0, exec_hi, v0
	v_cmp_eq_u32_e32 vcc, 0, v0
	s_and_saveexec_b64 s[0:1], vcc
	s_xor_b64 s[0:1], exec, s[0:1]
	s_cbranch_execz .LBB7_142
; %bb.141:
	v_mov_b32_e32 v0, 0
	v_mov_b32_e32 v1, s2
	global_atomic_smin v0, v1, s[26:27]
.LBB7_142:
	s_endpgm
	.section	.rodata,"a",@progbits
	.p2align	6, 0x0
	.amdhsa_kernel _ZN9rocsparseL15bsrilu0_generalILj128ELj64ELb1EdEEv20rocsparse_direction_iPKiS3_PT2_S3_iPiS3_S6_21rocsparse_index_base_imNS_24const_host_device_scalarIfEENS8_IdEENS8_IS4_EEb
		.amdhsa_group_segment_fixed_size 0
		.amdhsa_private_segment_fixed_size 0
		.amdhsa_kernarg_size 116
		.amdhsa_user_sgpr_count 2
		.amdhsa_user_sgpr_dispatch_ptr 0
		.amdhsa_user_sgpr_queue_ptr 0
		.amdhsa_user_sgpr_kernarg_segment_ptr 1
		.amdhsa_user_sgpr_dispatch_id 0
		.amdhsa_user_sgpr_kernarg_preload_length 0
		.amdhsa_user_sgpr_kernarg_preload_offset 0
		.amdhsa_user_sgpr_private_segment_size 0
		.amdhsa_uses_dynamic_stack 0
		.amdhsa_enable_private_segment 0
		.amdhsa_system_sgpr_workgroup_id_x 1
		.amdhsa_system_sgpr_workgroup_id_y 0
		.amdhsa_system_sgpr_workgroup_id_z 0
		.amdhsa_system_sgpr_workgroup_info 0
		.amdhsa_system_vgpr_workitem_id 0
		.amdhsa_next_free_vgpr 42
		.amdhsa_next_free_sgpr 68
		.amdhsa_accum_offset 44
		.amdhsa_reserve_vcc 1
		.amdhsa_float_round_mode_32 0
		.amdhsa_float_round_mode_16_64 0
		.amdhsa_float_denorm_mode_32 3
		.amdhsa_float_denorm_mode_16_64 3
		.amdhsa_dx10_clamp 1
		.amdhsa_ieee_mode 1
		.amdhsa_fp16_overflow 0
		.amdhsa_tg_split 0
		.amdhsa_exception_fp_ieee_invalid_op 0
		.amdhsa_exception_fp_denorm_src 0
		.amdhsa_exception_fp_ieee_div_zero 0
		.amdhsa_exception_fp_ieee_overflow 0
		.amdhsa_exception_fp_ieee_underflow 0
		.amdhsa_exception_fp_ieee_inexact 0
		.amdhsa_exception_int_div_zero 0
	.end_amdhsa_kernel
	.section	.text._ZN9rocsparseL15bsrilu0_generalILj128ELj64ELb1EdEEv20rocsparse_direction_iPKiS3_PT2_S3_iPiS3_S6_21rocsparse_index_base_imNS_24const_host_device_scalarIfEENS8_IdEENS8_IS4_EEb,"axG",@progbits,_ZN9rocsparseL15bsrilu0_generalILj128ELj64ELb1EdEEv20rocsparse_direction_iPKiS3_PT2_S3_iPiS3_S6_21rocsparse_index_base_imNS_24const_host_device_scalarIfEENS8_IdEENS8_IS4_EEb,comdat
.Lfunc_end7:
	.size	_ZN9rocsparseL15bsrilu0_generalILj128ELj64ELb1EdEEv20rocsparse_direction_iPKiS3_PT2_S3_iPiS3_S6_21rocsparse_index_base_imNS_24const_host_device_scalarIfEENS8_IdEENS8_IS4_EEb, .Lfunc_end7-_ZN9rocsparseL15bsrilu0_generalILj128ELj64ELb1EdEEv20rocsparse_direction_iPKiS3_PT2_S3_iPiS3_S6_21rocsparse_index_base_imNS_24const_host_device_scalarIfEENS8_IdEENS8_IS4_EEb
                                        ; -- End function
	.set _ZN9rocsparseL15bsrilu0_generalILj128ELj64ELb1EdEEv20rocsparse_direction_iPKiS3_PT2_S3_iPiS3_S6_21rocsparse_index_base_imNS_24const_host_device_scalarIfEENS8_IdEENS8_IS4_EEb.num_vgpr, 42
	.set _ZN9rocsparseL15bsrilu0_generalILj128ELj64ELb1EdEEv20rocsparse_direction_iPKiS3_PT2_S3_iPiS3_S6_21rocsparse_index_base_imNS_24const_host_device_scalarIfEENS8_IdEENS8_IS4_EEb.num_agpr, 0
	.set _ZN9rocsparseL15bsrilu0_generalILj128ELj64ELb1EdEEv20rocsparse_direction_iPKiS3_PT2_S3_iPiS3_S6_21rocsparse_index_base_imNS_24const_host_device_scalarIfEENS8_IdEENS8_IS4_EEb.numbered_sgpr, 68
	.set _ZN9rocsparseL15bsrilu0_generalILj128ELj64ELb1EdEEv20rocsparse_direction_iPKiS3_PT2_S3_iPiS3_S6_21rocsparse_index_base_imNS_24const_host_device_scalarIfEENS8_IdEENS8_IS4_EEb.num_named_barrier, 0
	.set _ZN9rocsparseL15bsrilu0_generalILj128ELj64ELb1EdEEv20rocsparse_direction_iPKiS3_PT2_S3_iPiS3_S6_21rocsparse_index_base_imNS_24const_host_device_scalarIfEENS8_IdEENS8_IS4_EEb.private_seg_size, 0
	.set _ZN9rocsparseL15bsrilu0_generalILj128ELj64ELb1EdEEv20rocsparse_direction_iPKiS3_PT2_S3_iPiS3_S6_21rocsparse_index_base_imNS_24const_host_device_scalarIfEENS8_IdEENS8_IS4_EEb.uses_vcc, 1
	.set _ZN9rocsparseL15bsrilu0_generalILj128ELj64ELb1EdEEv20rocsparse_direction_iPKiS3_PT2_S3_iPiS3_S6_21rocsparse_index_base_imNS_24const_host_device_scalarIfEENS8_IdEENS8_IS4_EEb.uses_flat_scratch, 0
	.set _ZN9rocsparseL15bsrilu0_generalILj128ELj64ELb1EdEEv20rocsparse_direction_iPKiS3_PT2_S3_iPiS3_S6_21rocsparse_index_base_imNS_24const_host_device_scalarIfEENS8_IdEENS8_IS4_EEb.has_dyn_sized_stack, 0
	.set _ZN9rocsparseL15bsrilu0_generalILj128ELj64ELb1EdEEv20rocsparse_direction_iPKiS3_PT2_S3_iPiS3_S6_21rocsparse_index_base_imNS_24const_host_device_scalarIfEENS8_IdEENS8_IS4_EEb.has_recursion, 0
	.set _ZN9rocsparseL15bsrilu0_generalILj128ELj64ELb1EdEEv20rocsparse_direction_iPKiS3_PT2_S3_iPiS3_S6_21rocsparse_index_base_imNS_24const_host_device_scalarIfEENS8_IdEENS8_IS4_EEb.has_indirect_call, 0
	.section	.AMDGPU.csdata,"",@progbits
; Kernel info:
; codeLenInByte = 3676
; TotalNumSgprs: 74
; NumVgprs: 42
; NumAgprs: 0
; TotalNumVgprs: 42
; ScratchSize: 0
; MemoryBound: 0
; FloatMode: 240
; IeeeMode: 1
; LDSByteSize: 0 bytes/workgroup (compile time only)
; SGPRBlocks: 9
; VGPRBlocks: 5
; NumSGPRsForWavesPerEU: 74
; NumVGPRsForWavesPerEU: 42
; AccumOffset: 44
; Occupancy: 8
; WaveLimiterHint : 1
; COMPUTE_PGM_RSRC2:SCRATCH_EN: 0
; COMPUTE_PGM_RSRC2:USER_SGPR: 2
; COMPUTE_PGM_RSRC2:TRAP_HANDLER: 0
; COMPUTE_PGM_RSRC2:TGID_X_EN: 1
; COMPUTE_PGM_RSRC2:TGID_Y_EN: 0
; COMPUTE_PGM_RSRC2:TGID_Z_EN: 0
; COMPUTE_PGM_RSRC2:TIDIG_COMP_CNT: 0
; COMPUTE_PGM_RSRC3_GFX90A:ACCUM_OFFSET: 10
; COMPUTE_PGM_RSRC3_GFX90A:TG_SPLIT: 0
	.section	.text._ZN9rocsparseL15bsrilu0_generalILj128ELj32ELb0EdEEv20rocsparse_direction_iPKiS3_PT2_S3_iPiS3_S6_21rocsparse_index_base_imNS_24const_host_device_scalarIfEENS8_IdEENS8_IS4_EEb,"axG",@progbits,_ZN9rocsparseL15bsrilu0_generalILj128ELj32ELb0EdEEv20rocsparse_direction_iPKiS3_PT2_S3_iPiS3_S6_21rocsparse_index_base_imNS_24const_host_device_scalarIfEENS8_IdEENS8_IS4_EEb,comdat
	.globl	_ZN9rocsparseL15bsrilu0_generalILj128ELj32ELb0EdEEv20rocsparse_direction_iPKiS3_PT2_S3_iPiS3_S6_21rocsparse_index_base_imNS_24const_host_device_scalarIfEENS8_IdEENS8_IS4_EEb ; -- Begin function _ZN9rocsparseL15bsrilu0_generalILj128ELj32ELb0EdEEv20rocsparse_direction_iPKiS3_PT2_S3_iPiS3_S6_21rocsparse_index_base_imNS_24const_host_device_scalarIfEENS8_IdEENS8_IS4_EEb
	.p2align	8
	.type	_ZN9rocsparseL15bsrilu0_generalILj128ELj32ELb0EdEEv20rocsparse_direction_iPKiS3_PT2_S3_iPiS3_S6_21rocsparse_index_base_imNS_24const_host_device_scalarIfEENS8_IdEENS8_IS4_EEb,@function
_ZN9rocsparseL15bsrilu0_generalILj128ELj32ELb0EdEEv20rocsparse_direction_iPKiS3_PT2_S3_iPiS3_S6_21rocsparse_index_base_imNS_24const_host_device_scalarIfEENS8_IdEENS8_IS4_EEb: ; @_ZN9rocsparseL15bsrilu0_generalILj128ELj32ELb0EdEEv20rocsparse_direction_iPKiS3_PT2_S3_iPiS3_S6_21rocsparse_index_base_imNS_24const_host_device_scalarIfEENS8_IdEENS8_IS4_EEb
; %bb.0:
	s_load_dword s3, s[0:1], 0x70
	s_load_dwordx2 s[14:15], s[0:1], 0x48
	s_load_dwordx8 s[24:31], s[0:1], 0x50
	s_waitcnt lgkmcnt(0)
	s_bitcmp1_b32 s3, 0
	s_cselect_b64 s[4:5], -1, 0
	s_cmp_eq_u32 s15, 0
	s_cselect_b64 s[6:7], -1, 0
	s_cmp_lg_u32 s15, 0
	s_cselect_b64 s[36:37], -1, 0
	s_or_b64 s[4:5], s[6:7], s[4:5]
	s_xor_b64 s[8:9], s[4:5], -1
	s_and_b64 s[10:11], s[6:7], exec
	s_cselect_b32 s11, 0, s29
	s_cselect_b32 s10, 0, s28
	s_and_b64 vcc, exec, s[4:5]
	s_cbranch_vccnz .LBB8_2
; %bb.1:
	s_load_dword s3, s[26:27], 0x0
	s_mov_b64 s[10:11], s[28:29]
	s_waitcnt lgkmcnt(0)
	v_mov_b32_e32 v32, s3
	s_branch .LBB8_3
.LBB8_2:
	v_mov_b32_e32 v1, s26
	v_cndmask_b32_e64 v32, v1, 0, s[6:7]
.LBB8_3:
	v_cndmask_b32_e64 v1, 0, 1, s[8:9]
	v_cmp_ne_u32_e64 s[4:5], 1, v1
	s_andn2_b64 vcc, exec, s[8:9]
	v_mov_b64_e32 v[8:9], s[10:11]
	s_cbranch_vccnz .LBB8_5
; %bb.4:
	v_mov_b64_e32 v[2:3], s[28:29]
	flat_load_dwordx2 v[8:9], v[2:3]
.LBB8_5:
	s_and_b64 s[6:7], s[6:7], exec
	s_cselect_b32 s7, 0, s31
	s_cselect_b32 s6, 0, s30
	s_and_b64 vcc, exec, s[4:5]
	v_mov_b64_e32 v[4:5], s[6:7]
	s_cbranch_vccnz .LBB8_7
; %bb.6:
	v_mov_b64_e32 v[2:3], s[30:31]
	flat_load_dwordx2 v[4:5], v[2:3]
.LBB8_7:
	s_load_dwordx2 s[34:35], s[0:1], 0x0
	s_lshl_b32 s2, s2, 2
	v_lshrrev_b32_e32 v1, 5, v0
	s_and_b32 s2, s2, 0x7fffffc
	v_or_b32_e32 v1, s2, v1
	s_waitcnt lgkmcnt(0)
	v_cmp_gt_i32_e32 vcc, s35, v1
	s_and_saveexec_b64 s[2:3], vcc
	s_cbranch_execz .LBB8_140
; %bb.8:
	s_load_dwordx4 s[28:31], s[0:1], 0x30
	s_load_dwordx2 s[26:27], s[0:1], 0x40
	v_lshlrev_b32_e32 v1, 2, v1
	s_load_dwordx8 s[16:23], s[0:1], 0x8
	v_and_b32_e32 v0, 31, v0
	s_waitcnt lgkmcnt(0)
	global_load_dword v2, v1, s[30:31]
	s_mov_b64 s[2:3], -1
	s_waitcnt vmcnt(0)
	v_ashrrev_i32_e32 v3, 31, v2
	v_lshl_add_u64 v[6:7], v[2:3], 2, s[22:23]
	global_load_dword v6, v[6:7], off
	s_waitcnt vmcnt(0)
	v_cmp_ne_u32_e32 vcc, -1, v6
	s_and_saveexec_b64 s[30:31], vcc
	s_cbranch_execz .LBB8_134
; %bb.9:
	v_lshl_add_u64 v[10:11], v[2:3], 2, s[16:17]
	global_load_dwordx2 v[10:11], v[10:11], off
	s_load_dword s15, s[0:1], 0x28
	s_mov_b64 s[8:9], 0
	s_waitcnt vmcnt(0)
	v_subrev_u32_e32 v10, s14, v10
	v_subrev_u32_e32 v1, s14, v11
	v_cmp_lt_i32_e32 vcc, v10, v6
	s_and_saveexec_b64 s[38:39], vcc
	s_cbranch_execz .LBB8_75
; %bb.10:
	s_waitcnt lgkmcnt(0)
	s_cmp_gt_i32 s15, 0
	s_cselect_b64 s[6:7], -1, 0
	v_add_u32_e32 v12, v10, v0
	v_mad_u64_u32 v[16:17], s[8:9], s15, v10, v[0:1]
	v_cndmask_b32_e64 v11, 0, 1, s[6:7]
	s_cmp_lg_u32 s34, 0
	v_ashrrev_i32_e32 v13, 31, v12
	v_mul_lo_u32 v7, s15, v16
	v_cmp_ne_u32_e64 s[6:7], 1, v11
	v_mbcnt_lo_u32_b32 v11, -1, 0
	s_cselect_b64 s[40:41], -1, 0
	v_cmp_gt_i32_e64 s[0:1], s15, v0
	v_cmp_le_i32_e64 s[2:3], s15, v0
	v_cmp_lt_i32_e64 s[4:5], v12, v1
	s_add_i32 s33, s35, 1
	v_lshl_add_u64 v[14:15], v[12:13], 2, s[18:19]
	s_mul_i32 s35, s15, s15
	s_add_i32 s60, s15, 1
	v_add_u32_e32 v13, 1, v7
	s_lshl_b32 s61, s15, 5
	s_add_i32 s62, s15, -1
	s_mov_b64 s[48:49], 0
	s_mov_b64 s[42:43], 0
	v_mbcnt_hi_u32_b32 v33, -1, v11
                                        ; implicit-def: $sgpr44_sgpr45
                                        ; implicit-def: $sgpr46_sgpr47
	s_branch .LBB8_13
.LBB8_11:                               ;   in Loop: Header=BB8_13 Depth=1
	s_or_b64 exec, exec, s[10:11]
	s_andn2_b64 s[10:11], s[46:47], exec
	s_and_b64 s[12:13], s[48:49], exec
	s_or_b64 s[46:47], s[10:11], s[12:13]
.LBB8_12:                               ;   in Loop: Header=BB8_13 Depth=1
	s_or_b64 exec, exec, s[50:51]
	v_add_u32_e32 v10, 1, v10
	v_cmp_ge_i32_e32 vcc, v10, v6
	s_xor_b64 s[8:9], s[8:9], -1
	s_or_b64 s[8:9], s[8:9], vcc
	s_and_b64 s[8:9], exec, s[8:9]
	s_or_b64 s[42:43], s[8:9], s[42:43]
	s_andn2_b64 s[8:9], s[44:45], exec
	s_and_b64 s[10:11], s[46:47], exec
	v_add_u32_e32 v13, s35, v13
	v_add_u32_e32 v7, s35, v7
	s_or_b64 s[44:45], s[8:9], s[10:11]
	s_mov_b64 s[48:49], s[46:47]
	s_andn2_b64 exec, exec, s[42:43]
	s_cbranch_execz .LBB8_74
.LBB8_13:                               ; =>This Loop Header: Depth=1
                                        ;     Child Loop BB8_16 Depth 2
                                        ;     Child Loop BB8_21 Depth 2
                                        ;       Child Loop BB8_26 Depth 3
                                        ;         Child Loop BB8_35 Depth 4
                                        ;     Child Loop BB8_48 Depth 2
                                        ;       Child Loop BB8_53 Depth 3
                                        ;       Child Loop BB8_60 Depth 3
                                        ;         Child Loop BB8_62 Depth 4
                                        ;           Child Loop BB8_64 Depth 5
	v_ashrrev_i32_e32 v11, 31, v10
	v_lshl_add_u64 v[16:17], v[10:11], 2, s[18:19]
	global_load_dword v11, v[16:17], off
	s_or_b64 s[46:47], s[46:47], exec
	s_waitcnt vmcnt(0)
	v_subrev_u32_e32 v16, s14, v11
	v_ashrrev_i32_e32 v17, 31, v16
	s_waitcnt lgkmcnt(0)
	v_lshl_add_u64 v[18:19], v[16:17], 2, s[22:23]
	global_load_dword v19, v[18:19], off
	s_waitcnt vmcnt(0)
	v_cmp_ne_u32_e64 s[8:9], -1, v19
	s_and_saveexec_b64 s[50:51], s[8:9]
	s_cbranch_execz .LBB8_12
; %bb.14:                               ;   in Loop: Header=BB8_13 Depth=1
	v_lshlrev_b64 v[16:17], 2, v[16:17]
	v_lshl_add_u64 v[20:21], s[16:17], 0, v[16:17]
	v_lshl_add_u64 v[16:17], s[28:29], 0, v[16:17]
	global_load_dword v23, v[20:21], off offset:4
	global_load_dword v11, v[16:17], off sc1
	s_waitcnt vmcnt(0)
	v_cmp_eq_u32_e32 vcc, 0, v11
	s_and_saveexec_b64 s[10:11], vcc
	s_cbranch_execz .LBB8_17
; %bb.15:                               ;   in Loop: Header=BB8_13 Depth=1
	s_mov_b64 s[12:13], 0
.LBB8_16:                               ;   Parent Loop BB8_13 Depth=1
                                        ; =>  This Inner Loop Header: Depth=2
	global_load_dword v11, v[16:17], off sc1
	s_waitcnt vmcnt(0)
	v_cmp_ne_u32_e32 vcc, 0, v11
	s_or_b64 s[12:13], vcc, s[12:13]
	s_andn2_b64 exec, exec, s[12:13]
	s_cbranch_execnz .LBB8_16
.LBB8_17:                               ;   in Loop: Header=BB8_13 Depth=1
	s_or_b64 exec, exec, s[10:11]
	s_and_b64 vcc, exec, s[6:7]
	v_mul_lo_u32 v11, v10, s15
	buffer_inv sc1
	s_cbranch_vccnz .LBB8_44
; %bb.18:                               ;   in Loop: Header=BB8_13 Depth=1
	v_mad_u64_u32 v[16:17], s[10:11], s35, v19, 1
	v_mul_lo_u32 v34, v19, s15
	v_mov_b32_e32 v18, 0
	s_mov_b64 s[52:53], 0
	s_mov_b32 s63, s62
	v_mov_b32_e32 v17, v13
	s_branch .LBB8_21
.LBB8_19:                               ;   in Loop: Header=BB8_21 Depth=2
	s_or_b64 exec, exec, s[56:57]
	v_mov_b32_e32 v18, v35
.LBB8_20:                               ;   in Loop: Header=BB8_21 Depth=2
	s_or_b64 exec, exec, s[54:55]
	s_add_i32 s63, s63, -1
	v_cmp_eq_u32_e32 vcc, s15, v18
	v_add_u32_e32 v16, s60, v16
	s_or_b64 s[52:53], vcc, s[52:53]
	v_add_u32_e32 v17, 1, v17
	s_andn2_b64 exec, exec, s[52:53]
	s_cbranch_execz .LBB8_43
.LBB8_21:                               ;   Parent Loop BB8_13 Depth=1
                                        ; =>  This Loop Header: Depth=2
                                        ;       Child Loop BB8_26 Depth 3
                                        ;         Child Loop BB8_35 Depth 4
	v_add_u32_e32 v35, 1, v18
	s_and_saveexec_b64 s[10:11], s[2:3]
	s_xor_b64 s[10:11], exec, s[10:11]
; %bb.22:                               ;   in Loop: Header=BB8_21 Depth=2
	v_add_u32_e32 v18, 1, v18
                                        ; implicit-def: $vgpr35
; %bb.23:                               ;   in Loop: Header=BB8_21 Depth=2
	s_andn2_saveexec_b64 s[54:55], s[10:11]
	s_cbranch_execz .LBB8_20
; %bb.24:                               ;   in Loop: Header=BB8_21 Depth=2
	v_add_u32_e32 v20, v18, v34
	v_mad_u64_u32 v[20:21], s[10:11], v20, s15, v[18:19]
	v_ashrrev_i32_e32 v21, 31, v20
	v_lshl_add_u64 v[20:21], v[20:21], 3, s[20:21]
	global_load_dwordx2 v[20:21], v[20:21], off
	v_add_u32_e32 v22, v18, v11
	v_mul_lo_u32 v36, v22, s15
	v_cmp_gt_i32_e64 s[10:11], s15, v35
	s_mov_b64 s[56:57], 0
	v_mov_b32_e32 v37, v17
	v_mov_b32_e32 v22, v0
	s_branch .LBB8_26
.LBB8_25:                               ;   in Loop: Header=BB8_26 Depth=3
	s_or_b64 exec, exec, s[58:59]
	v_add_u32_e32 v22, 32, v22
	v_cmp_le_i32_e32 vcc, s15, v22
	s_or_b64 s[56:57], vcc, s[56:57]
	v_add_u32_e32 v37, s61, v37
	s_andn2_b64 exec, exec, s[56:57]
	s_cbranch_execz .LBB8_19
.LBB8_26:                               ;   Parent Loop BB8_13 Depth=1
                                        ;     Parent Loop BB8_21 Depth=2
                                        ; =>    This Loop Header: Depth=3
                                        ;         Child Loop BB8_35 Depth 4
	s_and_b64 vcc, exec, s[40:41]
	v_add_u32_e32 v26, v22, v36
	s_cbranch_vccz .LBB8_41
; %bb.27:                               ;   in Loop: Header=BB8_26 Depth=3
	v_add_u32_e32 v24, v22, v36
	v_add_u32_e32 v27, v22, v11
	s_cbranch_execnz .LBB8_29
.LBB8_28:                               ;   in Loop: Header=BB8_26 Depth=3
	v_mad_u64_u32 v[24:25], s[12:13], v27, s15, v[18:19]
.LBB8_29:                               ;   in Loop: Header=BB8_26 Depth=3
	v_ashrrev_i32_e32 v25, 31, v24
	v_lshl_add_u64 v[24:25], v[24:25], 3, s[20:21]
	global_load_dwordx2 v[24:25], v[24:25], off
	s_and_b64 vcc, exec, s[40:41]
	s_cbranch_vccz .LBB8_42
; %bb.30:                               ;   in Loop: Header=BB8_26 Depth=3
	s_cbranch_execnz .LBB8_32
.LBB8_31:                               ;   in Loop: Header=BB8_26 Depth=3
	v_mad_u64_u32 v[26:27], s[12:13], v27, s15, v[18:19]
.LBB8_32:                               ;   in Loop: Header=BB8_26 Depth=3
	s_waitcnt vmcnt(0)
	v_div_scale_f64 v[28:29], s[12:13], v[20:21], v[20:21], v[24:25]
	v_rcp_f64_e32 v[30:31], v[28:29]
	v_div_scale_f64 v[38:39], vcc, v[24:25], v[20:21], v[24:25]
	v_ashrrev_i32_e32 v27, 31, v26
	v_fma_f64 v[40:41], -v[28:29], v[30:31], 1.0
	v_fmac_f64_e32 v[30:31], v[30:31], v[40:41]
	v_fma_f64 v[40:41], -v[28:29], v[30:31], 1.0
	v_fmac_f64_e32 v[30:31], v[30:31], v[40:41]
	v_mul_f64 v[40:41], v[38:39], v[30:31]
	v_fma_f64 v[28:29], -v[28:29], v[40:41], v[38:39]
	v_div_fmas_f64 v[28:29], v[28:29], v[30:31], v[40:41]
	v_div_fixup_f64 v[24:25], v[28:29], v[20:21], v[24:25]
	v_lshl_add_u64 v[26:27], v[26:27], 3, s[20:21]
	global_store_dwordx2 v[26:27], v[24:25], off
	s_and_saveexec_b64 s[58:59], s[10:11]
	s_cbranch_execz .LBB8_25
; %bb.33:                               ;   in Loop: Header=BB8_26 Depth=3
	s_mov_b32 s64, s63
	v_mov_b32_e32 v38, v37
	v_mov_b32_e32 v39, v16
	;; [unrolled: 1-line block ×3, first 2 shown]
	s_branch .LBB8_35
.LBB8_34:                               ;   in Loop: Header=BB8_35 Depth=4
	v_ashrrev_i32_e32 v29, 31, v28
	s_add_i32 s64, s64, -1
	s_waitcnt vmcnt(0)
	v_fma_f64 v[26:27], -v[24:25], v[26:27], v[30:31]
	v_lshl_add_u64 v[28:29], v[28:29], 3, s[20:21]
	v_add_u32_e32 v40, 1, v40
	v_add_u32_e32 v39, 1, v39
	s_cmp_eq_u32 s64, 0
	v_add_u32_e32 v38, 1, v38
	global_store_dwordx2 v[28:29], v[26:27], off
	s_cbranch_scc1 .LBB8_25
.LBB8_35:                               ;   Parent Loop BB8_13 Depth=1
                                        ;     Parent Loop BB8_21 Depth=2
                                        ;       Parent Loop BB8_26 Depth=3
                                        ; =>      This Inner Loop Header: Depth=4
	v_cndmask_b32_e64 v26, 0, 1, s[40:41]
	v_cmp_ne_u32_e64 s[12:13], 1, v26
	s_andn2_b64 vcc, exec, s[40:41]
	v_mov_b32_e32 v26, v39
	s_cbranch_vccnz .LBB8_37
; %bb.36:                               ;   in Loop: Header=BB8_35 Depth=4
	v_add_u32_e32 v26, v40, v34
	v_mad_u64_u32 v[26:27], s[66:67], v26, s15, v[18:19]
.LBB8_37:                               ;   in Loop: Header=BB8_35 Depth=4
	v_ashrrev_i32_e32 v27, 31, v26
	v_lshl_add_u64 v[26:27], v[26:27], 3, s[20:21]
	global_load_dwordx2 v[26:27], v[26:27], off
	s_and_b64 vcc, exec, s[12:13]
	v_add_u32_e32 v41, v40, v11
	v_mov_b32_e32 v28, v38
	s_cbranch_vccnz .LBB8_39
; %bb.38:                               ;   in Loop: Header=BB8_35 Depth=4
	v_mad_u64_u32 v[28:29], s[66:67], v41, s15, v[22:23]
.LBB8_39:                               ;   in Loop: Header=BB8_35 Depth=4
	v_ashrrev_i32_e32 v29, 31, v28
	v_lshl_add_u64 v[28:29], v[28:29], 3, s[20:21]
	global_load_dwordx2 v[30:31], v[28:29], off
	s_and_b64 vcc, exec, s[12:13]
	v_mov_b32_e32 v28, v38
	s_cbranch_vccnz .LBB8_34
; %bb.40:                               ;   in Loop: Header=BB8_35 Depth=4
	v_mad_u64_u32 v[28:29], s[12:13], v41, s15, v[22:23]
	s_branch .LBB8_34
.LBB8_41:                               ;   in Loop: Header=BB8_26 Depth=3
                                        ; implicit-def: $vgpr24
	v_add_u32_e32 v27, v22, v11
	s_branch .LBB8_28
.LBB8_42:                               ;   in Loop: Header=BB8_26 Depth=3
                                        ; implicit-def: $vgpr26
	s_branch .LBB8_31
.LBB8_43:                               ;   in Loop: Header=BB8_13 Depth=1
	s_or_b64 exec, exec, s[52:53]
.LBB8_44:                               ;   in Loop: Header=BB8_13 Depth=1
	v_subrev_u32_e32 v26, s14, v23
	v_add_u32_e32 v16, 1, v19
	v_cmp_lt_i32_e32 vcc, v16, v26
	s_and_saveexec_b64 s[10:11], vcc
	s_cbranch_execz .LBB8_11
; %bb.45:                               ;   in Loop: Header=BB8_13 Depth=1
	v_mul_lo_u32 v27, s35, v16
	s_mov_b64 s[12:13], 0
	s_branch .LBB8_48
.LBB8_46:                               ;   in Loop: Header=BB8_48 Depth=2
	s_or_b64 exec, exec, s[52:53]
.LBB8_47:                               ;   in Loop: Header=BB8_48 Depth=2
	v_add_u32_e32 v16, 1, v16
	v_cmp_ge_i32_e32 vcc, v16, v26
	s_or_b64 s[12:13], vcc, s[12:13]
	v_add_u32_e32 v27, s35, v27
	s_andn2_b64 exec, exec, s[12:13]
	s_cbranch_execz .LBB8_11
.LBB8_48:                               ;   Parent Loop BB8_13 Depth=1
                                        ; =>  This Loop Header: Depth=2
                                        ;       Child Loop BB8_53 Depth 3
                                        ;       Child Loop BB8_60 Depth 3
                                        ;         Child Loop BB8_62 Depth 4
                                        ;           Child Loop BB8_64 Depth 5
	v_ashrrev_i32_e32 v17, 31, v16
	s_waitcnt lgkmcnt(0)
	v_lshl_add_u64 v[18:19], v[16:17], 2, s[18:19]
	global_load_dword v17, v[18:19], off
	v_mov_b32_e32 v19, s33
	s_and_saveexec_b64 s[52:53], s[4:5]
	s_cbranch_execz .LBB8_50
; %bb.49:                               ;   in Loop: Header=BB8_48 Depth=2
	global_load_dword v18, v[14:15], off
	s_waitcnt vmcnt(0)
	v_subrev_u32_e32 v19, s14, v18
.LBB8_50:                               ;   in Loop: Header=BB8_48 Depth=2
	s_or_b64 exec, exec, s[52:53]
	s_waitcnt vmcnt(0)
	v_subrev_u32_e32 v17, s14, v17
	v_cmp_lt_i32_e32 vcc, v19, v17
	v_mov_b32_e32 v20, v12
	s_and_saveexec_b64 s[52:53], vcc
	s_cbranch_execz .LBB8_56
; %bb.51:                               ;   in Loop: Header=BB8_48 Depth=2
	s_mov_b64 s[54:55], 0
	v_mov_b32_e32 v18, v12
	s_branch .LBB8_53
.LBB8_52:                               ;   in Loop: Header=BB8_53 Depth=3
	s_or_b64 exec, exec, s[56:57]
	v_cmp_ge_i32_e32 vcc, v19, v17
	s_or_b64 s[54:55], vcc, s[54:55]
	v_mov_b32_e32 v18, v20
	s_andn2_b64 exec, exec, s[54:55]
	s_cbranch_execz .LBB8_55
.LBB8_53:                               ;   Parent Loop BB8_13 Depth=1
                                        ;     Parent Loop BB8_48 Depth=2
                                        ; =>    This Inner Loop Header: Depth=3
	v_add_u32_e32 v20, 32, v18
	v_cmp_lt_i32_e32 vcc, v20, v1
	v_mov_b32_e32 v19, s33
	s_and_saveexec_b64 s[56:57], vcc
	s_cbranch_execz .LBB8_52
; %bb.54:                               ;   in Loop: Header=BB8_53 Depth=3
	v_ashrrev_i32_e32 v19, 31, v18
	v_lshl_add_u64 v[18:19], v[18:19], 2, s[18:19]
	global_load_dword v18, v[18:19], off offset:128
	s_waitcnt vmcnt(0)
	v_subrev_u32_e32 v19, s14, v18
	s_branch .LBB8_52
.LBB8_55:                               ;   in Loop: Header=BB8_48 Depth=2
	s_or_b64 exec, exec, s[54:55]
.LBB8_56:                               ;   in Loop: Header=BB8_48 Depth=2
	s_or_b64 exec, exec, s[52:53]
	v_cmp_eq_u32_e32 vcc, v19, v17
	s_cbranch_vccz .LBB8_47
; %bb.57:                               ;   in Loop: Header=BB8_48 Depth=2
	s_ff1_i32_b64 s52, vcc
	v_and_or_b32 v17, v33, 64, s52
	v_lshlrev_b32_e32 v17, 2, v17
	ds_bpermute_b32 v18, v17, v20
	s_and_saveexec_b64 s[52:53], s[0:1]
	s_cbranch_execz .LBB8_46
; %bb.58:                               ;   in Loop: Header=BB8_48 Depth=2
	v_mul_lo_u32 v17, v16, s15
	s_waitcnt lgkmcnt(0)
	v_mul_lo_u32 v19, v18, s15
	s_mov_b64 s[54:55], 0
	v_mov_b32_e32 v28, v7
	v_mov_b32_e32 v18, v0
	s_branch .LBB8_60
.LBB8_59:                               ;   in Loop: Header=BB8_60 Depth=3
	v_add_u32_e32 v18, 32, v18
	v_cmp_le_i32_e32 vcc, s15, v18
	s_or_b64 s[54:55], vcc, s[54:55]
	v_add_u32_e32 v28, s61, v28
	s_andn2_b64 exec, exec, s[54:55]
	s_cbranch_execz .LBB8_46
.LBB8_60:                               ;   Parent Loop BB8_13 Depth=1
                                        ;     Parent Loop BB8_48 Depth=2
                                        ; =>    This Loop Header: Depth=3
                                        ;         Child Loop BB8_62 Depth 4
                                        ;           Child Loop BB8_64 Depth 5
	v_add_u32_e32 v20, v18, v19
	v_mul_lo_u32 v29, v20, s15
	s_mov_b32 s58, 0
	v_mov_b32_e32 v30, v27
	s_branch .LBB8_62
.LBB8_61:                               ;   in Loop: Header=BB8_62 Depth=4
	v_ashrrev_i32_e32 v23, 31, v22
	v_lshl_add_u64 v[22:23], v[22:23], 3, s[20:21]
	global_load_dwordx2 v[24:25], v[22:23], off
	s_add_i32 s58, s58, 1
	s_cmp_eq_u32 s58, s15
	v_add_u32_e32 v30, 1, v30
	s_waitcnt vmcnt(0)
	v_add_f64 v[20:21], v[24:25], -v[20:21]
	global_store_dwordx2 v[22:23], v[20:21], off
	s_cbranch_scc1 .LBB8_59
.LBB8_62:                               ;   Parent Loop BB8_13 Depth=1
                                        ;     Parent Loop BB8_48 Depth=2
                                        ;       Parent Loop BB8_60 Depth=3
                                        ; =>      This Loop Header: Depth=4
                                        ;           Child Loop BB8_64 Depth 5
	v_add_u32_e32 v20, s58, v17
	v_mul_lo_u32 v31, v20, s15
	v_mov_b64_e32 v[20:21], 0
	v_mov_b32_e32 v34, v30
	s_mov_b32 s59, 0
	s_branch .LBB8_64
.LBB8_63:                               ;   in Loop: Header=BB8_64 Depth=5
	v_ashrrev_i32_e32 v25, 31, v24
	v_lshl_add_u64 v[24:25], v[24:25], 3, s[20:21]
	global_load_dwordx2 v[24:25], v[24:25], off
	s_add_i32 s59, s59, 1
	s_cmp_eq_u32 s15, s59
	v_add_u32_e32 v34, s15, v34
	s_waitcnt vmcnt(0)
	v_fmac_f64_e32 v[20:21], v[22:23], v[24:25]
	s_cbranch_scc1 .LBB8_70
.LBB8_64:                               ;   Parent Loop BB8_13 Depth=1
                                        ;     Parent Loop BB8_48 Depth=2
                                        ;       Parent Loop BB8_60 Depth=3
                                        ;         Parent Loop BB8_62 Depth=4
                                        ; =>        This Inner Loop Header: Depth=5
	s_and_b64 vcc, exec, s[40:41]
	s_cbranch_vccz .LBB8_69
; %bb.65:                               ;   in Loop: Header=BB8_64 Depth=5
	v_add_u32_e32 v22, s59, v11
	v_mad_u64_u32 v[22:23], s[56:57], v22, s15, v[18:19]
	s_cbranch_execnz .LBB8_67
.LBB8_66:                               ;   in Loop: Header=BB8_64 Depth=5
	v_add_u32_e32 v22, s59, v28
.LBB8_67:                               ;   in Loop: Header=BB8_64 Depth=5
	v_ashrrev_i32_e32 v23, 31, v22
	v_lshl_add_u64 v[22:23], v[22:23], 3, s[20:21]
	global_load_dwordx2 v[22:23], v[22:23], off
	s_andn2_b64 vcc, exec, s[40:41]
	v_mov_b32_e32 v24, v34
	s_cbranch_vccnz .LBB8_63
; %bb.68:                               ;   in Loop: Header=BB8_64 Depth=5
	v_add_u32_e32 v24, s59, v31
	s_branch .LBB8_63
.LBB8_69:                               ;   in Loop: Header=BB8_64 Depth=5
                                        ; implicit-def: $vgpr22
	s_branch .LBB8_66
.LBB8_70:                               ;   in Loop: Header=BB8_62 Depth=4
	s_and_b64 vcc, exec, s[40:41]
	s_cbranch_vccz .LBB8_72
; %bb.71:                               ;   in Loop: Header=BB8_62 Depth=4
	v_add_u32_e32 v22, s58, v19
	v_mad_u64_u32 v[22:23], s[56:57], v22, s15, v[18:19]
	s_cbranch_execnz .LBB8_61
	s_branch .LBB8_73
.LBB8_72:                               ;   in Loop: Header=BB8_62 Depth=4
                                        ; implicit-def: $vgpr22
.LBB8_73:                               ;   in Loop: Header=BB8_62 Depth=4
	v_add_u32_e32 v22, s58, v29
	s_branch .LBB8_61
.LBB8_74:
	s_or_b64 exec, exec, s[42:43]
	s_and_b64 s[8:9], s[44:45], exec
.LBB8_75:
	s_or_b64 exec, exec, s[38:39]
	v_ashrrev_i32_e32 v7, 31, v6
	v_lshl_add_u64 v[10:11], v[6:7], 2, s[18:19]
	global_load_dword v7, v[10:11], off
	s_waitcnt lgkmcnt(0)
	s_cmp_gt_i32 s15, 0
	s_cselect_b64 s[10:11], -1, 0
	s_waitcnt vmcnt(0)
	v_subrev_u32_e32 v7, s14, v7
	v_cmp_eq_u32_e32 vcc, v7, v2
	s_and_b64 s[0:1], s[10:11], vcc
	s_and_saveexec_b64 s[12:13], s[0:1]
	s_cbranch_execz .LBB8_109
; %bb.76:
	s_cmp_eq_u64 s[24:25], 8
	v_cvt_f64_f32_e32 v[10:11], v32
	s_cselect_b64 vcc, -1, 0
	s_mul_i32 s2, s15, s15
	v_cndmask_b32_e32 v9, v11, v9, vcc
	v_cndmask_b32_e32 v8, v10, v8, vcc
	v_mul_lo_u32 v7, v6, s15
	v_mad_u64_u32 v[10:11], s[2:3], v6, s2, 1
	s_cmp_lg_u32 s34, 0
	v_add_u32_e32 v11, v7, v0
	s_cselect_b64 s[16:17], -1, 0
	s_add_i32 s33, s15, 1
	v_mul_lo_u32 v11, s15, v11
	v_cndmask_b32_e64 v13, 0, 1, s[36:37]
	v_cmp_eq_u32_e64 s[0:1], 0, v0
	v_add_u32_e32 v11, s33, v11
	s_lshl_b32 s35, s15, 5
	s_add_i32 s46, s15, -1
	v_mov_b32_e32 v12, 0
	s_mov_b64 s[18:19], 0
	v_cmp_ne_u32_e64 s[2:3], 1, v13
	s_mov_b64 s[24:25], s[8:9]
                                        ; implicit-def: $sgpr22_sgpr23
	s_branch .LBB8_78
.LBB8_77:                               ;   in Loop: Header=BB8_78 Depth=1
	s_or_b64 exec, exec, s[4:5]
	s_add_i32 s46, s46, -1
	v_cmp_eq_u32_e32 vcc, s15, v17
	s_or_b64 s[18:19], vcc, s[18:19]
	s_andn2_b64 s[4:5], s[22:23], exec
	s_and_b64 s[6:7], s[24:25], exec
	v_add_u32_e32 v10, s33, v10
	v_add_u32_e32 v11, s33, v11
	s_or_b64 s[22:23], s[4:5], s[6:7]
	v_mov_b32_e32 v12, v17
	s_andn2_b64 exec, exec, s[18:19]
	s_cbranch_execz .LBB8_108
.LBB8_78:                               ; =>This Loop Header: Depth=1
                                        ;     Child Loop BB8_88 Depth 2
                                        ;       Child Loop BB8_97 Depth 3
	v_add_u32_e32 v13, v12, v7
	v_mul_lo_u32 v13, v13, s15
	v_add_u32_e32 v14, v13, v12
	v_ashrrev_i32_e32 v15, 31, v14
	v_lshl_add_u64 v[18:19], v[14:15], 3, s[20:21]
	global_load_dwordx2 v[14:15], v[18:19], off
	s_mov_b64 s[6:7], -1
	s_and_b64 vcc, exec, s[2:3]
	s_mov_b64 s[4:5], 0
                                        ; implicit-def: $vgpr16_vgpr17
	s_cbranch_vccnz .LBB8_82
; %bb.79:                               ;   in Loop: Header=BB8_78 Depth=1
	s_waitcnt vmcnt(0)
	v_cmp_ge_f64_e64 vcc, v[8:9], |v[14:15]|
	s_nop 1
	v_cndmask_b32_e32 v17, v15, v5, vcc
	v_cndmask_b32_e32 v16, v14, v4, vcc
	s_and_saveexec_b64 s[4:5], s[0:1]
	s_cbranch_execz .LBB8_81
; %bb.80:                               ;   in Loop: Header=BB8_78 Depth=1
	global_store_dwordx2 v[18:19], v[16:17], off
.LBB8_81:                               ;   in Loop: Header=BB8_78 Depth=1
	s_or_b64 exec, exec, s[4:5]
	s_mov_b64 s[6:7], 0
	s_mov_b64 s[4:5], -1
.LBB8_82:                               ;   in Loop: Header=BB8_78 Depth=1
	s_andn2_b64 vcc, exec, s[6:7]
	s_mov_b64 s[36:37], 0
	s_cbranch_vccnz .LBB8_84
; %bb.83:                               ;   in Loop: Header=BB8_78 Depth=1
	s_waitcnt vmcnt(0)
	v_cmp_neq_f64_e32 vcc, 0, v[14:15]
	s_andn2_b64 s[4:5], s[4:5], exec
	s_and_b64 s[6:7], vcc, exec
	s_mov_b64 s[36:37], -1
	s_or_b64 s[4:5], s[4:5], s[6:7]
                                        ; implicit-def: $vgpr17
	s_and_saveexec_b64 s[6:7], s[4:5]
	s_xor_b64 s[38:39], exec, s[6:7]
	s_cbranch_execnz .LBB8_85
	s_branch .LBB8_106
.LBB8_84:                               ;   in Loop: Header=BB8_78 Depth=1
	s_waitcnt vmcnt(0)
	v_mov_b64_e32 v[14:15], v[16:17]
                                        ; implicit-def: $vgpr17
	s_and_saveexec_b64 s[6:7], s[4:5]
	s_xor_b64 s[38:39], exec, s[6:7]
	s_cbranch_execz .LBB8_106
.LBB8_85:                               ;   in Loop: Header=BB8_78 Depth=1
	v_add_u32_e32 v17, 1, v12
	v_add_u32_e32 v16, v17, v0
	v_cmp_gt_i32_e32 vcc, s15, v16
	s_and_saveexec_b64 s[40:41], vcc
	s_cbranch_execz .LBB8_105
; %bb.86:                               ;   in Loop: Header=BB8_78 Depth=1
	v_cmp_gt_i32_e64 s[4:5], s15, v17
	s_mov_b64 s[42:43], 0
	v_mov_b32_e32 v26, v11
	s_branch .LBB8_88
.LBB8_87:                               ;   in Loop: Header=BB8_88 Depth=2
	s_or_b64 exec, exec, s[44:45]
	v_add_u32_e32 v16, 32, v16
	v_cmp_le_i32_e32 vcc, s15, v16
	s_or_b64 s[42:43], vcc, s[42:43]
	v_add_u32_e32 v26, s35, v26
	s_andn2_b64 exec, exec, s[42:43]
	s_cbranch_execz .LBB8_105
.LBB8_88:                               ;   Parent Loop BB8_78 Depth=1
                                        ; =>  This Loop Header: Depth=2
                                        ;       Child Loop BB8_97 Depth 3
	s_and_b64 vcc, exec, s[16:17]
	v_add_u32_e32 v20, v16, v13
	s_cbranch_vccz .LBB8_103
; %bb.89:                               ;   in Loop: Header=BB8_88 Depth=2
	v_add_u32_e32 v18, v16, v13
	s_cbranch_execnz .LBB8_91
.LBB8_90:                               ;   in Loop: Header=BB8_88 Depth=2
	v_add_u32_e32 v18, v16, v7
	v_mad_u64_u32 v[18:19], s[6:7], v18, s15, v[12:13]
.LBB8_91:                               ;   in Loop: Header=BB8_88 Depth=2
	v_ashrrev_i32_e32 v19, 31, v18
	v_lshl_add_u64 v[18:19], v[18:19], 3, s[20:21]
	global_load_dwordx2 v[18:19], v[18:19], off
	s_and_b64 vcc, exec, s[16:17]
	s_cbranch_vccz .LBB8_104
; %bb.92:                               ;   in Loop: Header=BB8_88 Depth=2
	s_cbranch_execnz .LBB8_94
.LBB8_93:                               ;   in Loop: Header=BB8_88 Depth=2
	v_add_u32_e32 v20, v16, v7
	v_mad_u64_u32 v[20:21], s[6:7], v20, s15, v[12:13]
.LBB8_94:                               ;   in Loop: Header=BB8_88 Depth=2
	s_waitcnt vmcnt(0)
	v_div_scale_f64 v[22:23], s[6:7], v[14:15], v[14:15], v[18:19]
	v_rcp_f64_e32 v[24:25], v[22:23]
	v_div_scale_f64 v[28:29], vcc, v[18:19], v[14:15], v[18:19]
	v_ashrrev_i32_e32 v21, 31, v20
	v_fma_f64 v[30:31], -v[22:23], v[24:25], 1.0
	v_fmac_f64_e32 v[24:25], v[24:25], v[30:31]
	v_fma_f64 v[30:31], -v[22:23], v[24:25], 1.0
	v_fmac_f64_e32 v[24:25], v[24:25], v[30:31]
	v_mul_f64 v[30:31], v[28:29], v[24:25]
	v_fma_f64 v[22:23], -v[22:23], v[30:31], v[28:29]
	v_div_fmas_f64 v[22:23], v[22:23], v[24:25], v[30:31]
	v_div_fixup_f64 v[18:19], v[22:23], v[14:15], v[18:19]
	v_lshl_add_u64 v[20:21], v[20:21], 3, s[20:21]
	global_store_dwordx2 v[20:21], v[18:19], off
	s_and_saveexec_b64 s[44:45], s[4:5]
	s_cbranch_execz .LBB8_87
; %bb.95:                               ;   in Loop: Header=BB8_88 Depth=2
	s_mov_b32 s47, s46
	v_mov_b32_e32 v27, v26
	v_mov_b32_e32 v28, v10
	;; [unrolled: 1-line block ×3, first 2 shown]
	s_branch .LBB8_97
.LBB8_96:                               ;   in Loop: Header=BB8_97 Depth=3
	v_ashrrev_i32_e32 v23, 31, v22
	s_add_i32 s47, s47, -1
	s_waitcnt vmcnt(0)
	v_fma_f64 v[20:21], -v[18:19], v[20:21], v[24:25]
	v_lshl_add_u64 v[22:23], v[22:23], 3, s[20:21]
	v_add_u32_e32 v29, 1, v29
	v_add_u32_e32 v28, 1, v28
	s_cmp_eq_u32 s47, 0
	v_add_u32_e32 v27, 1, v27
	global_store_dwordx2 v[22:23], v[20:21], off
	s_cbranch_scc1 .LBB8_87
.LBB8_97:                               ;   Parent Loop BB8_78 Depth=1
                                        ;     Parent Loop BB8_88 Depth=2
                                        ; =>    This Inner Loop Header: Depth=3
	v_cndmask_b32_e64 v20, 0, 1, s[16:17]
	v_cmp_ne_u32_e64 s[6:7], 1, v20
	s_andn2_b64 vcc, exec, s[16:17]
	v_add_u32_e32 v30, v29, v7
	v_mov_b32_e32 v20, v28
	s_cbranch_vccnz .LBB8_99
; %bb.98:                               ;   in Loop: Header=BB8_97 Depth=3
	v_mad_u64_u32 v[20:21], s[48:49], v30, s15, v[12:13]
.LBB8_99:                               ;   in Loop: Header=BB8_97 Depth=3
	v_ashrrev_i32_e32 v21, 31, v20
	v_lshl_add_u64 v[20:21], v[20:21], 3, s[20:21]
	global_load_dwordx2 v[20:21], v[20:21], off
	s_and_b64 vcc, exec, s[6:7]
	v_mov_b32_e32 v22, v27
	s_cbranch_vccnz .LBB8_101
; %bb.100:                              ;   in Loop: Header=BB8_97 Depth=3
	v_mad_u64_u32 v[22:23], s[48:49], v30, s15, v[16:17]
.LBB8_101:                              ;   in Loop: Header=BB8_97 Depth=3
	v_ashrrev_i32_e32 v23, 31, v22
	v_lshl_add_u64 v[22:23], v[22:23], 3, s[20:21]
	global_load_dwordx2 v[24:25], v[22:23], off
	s_and_b64 vcc, exec, s[6:7]
	v_mov_b32_e32 v22, v27
	s_cbranch_vccnz .LBB8_96
; %bb.102:                              ;   in Loop: Header=BB8_97 Depth=3
	v_mad_u64_u32 v[22:23], s[6:7], v30, s15, v[16:17]
	s_branch .LBB8_96
.LBB8_103:                              ;   in Loop: Header=BB8_88 Depth=2
                                        ; implicit-def: $vgpr18
	s_branch .LBB8_90
.LBB8_104:                              ;   in Loop: Header=BB8_88 Depth=2
                                        ; implicit-def: $vgpr20
	s_branch .LBB8_93
.LBB8_105:                              ;   in Loop: Header=BB8_78 Depth=1
	s_or_b64 exec, exec, s[40:41]
	s_andn2_b64 s[36:37], s[36:37], exec
.LBB8_106:                              ;   in Loop: Header=BB8_78 Depth=1
	s_or_b64 exec, exec, s[38:39]
	s_andn2_b64 s[4:5], s[24:25], exec
	s_and_b64 s[6:7], s[24:25], exec
	s_or_b64 s[24:25], s[4:5], s[6:7]
	s_and_saveexec_b64 s[4:5], s[36:37]
	s_cbranch_execz .LBB8_77
; %bb.107:                              ;   in Loop: Header=BB8_78 Depth=1
	v_add_u32_e32 v17, 1, v12
	s_or_b64 s[24:25], s[24:25], exec
	s_branch .LBB8_77
.LBB8_108:
	s_or_b64 exec, exec, s[18:19]
	s_andn2_b64 s[0:1], s[8:9], exec
	s_and_b64 s[2:3], s[22:23], exec
	s_or_b64 s[8:9], s[0:1], s[2:3]
.LBB8_109:
	s_or_b64 exec, exec, s[12:13]
	v_add_u32_e32 v12, 1, v6
	v_cmp_lt_i32_e32 vcc, v12, v1
	s_and_saveexec_b64 s[6:7], vcc
	s_cbranch_execz .LBB8_133
; %bb.110:
	v_mul_lo_u32 v13, v6, s15
	v_mul_lo_u32 v4, s15, v13
	s_mul_i32 s25, s15, s15
	v_add_u32_e32 v14, s15, v4
	v_mul_lo_u32 v4, s25, v12
	s_cmp_lg_u32 s34, 0
	v_add3_u32 v15, v4, s15, v0
	v_cndmask_b32_e64 v4, 0, 1, s[10:11]
	v_cmp_gt_i32_e64 s[0:1], s15, v0
	s_cselect_b64 s[12:13], -1, 0
	s_add_i32 s24, s15, 1
	s_add_i32 s33, s15, -1
	s_mov_b64 s[16:17], 0
	v_cmp_ne_u32_e64 s[2:3], 1, v4
	s_branch .LBB8_112
.LBB8_111:                              ;   in Loop: Header=BB8_112 Depth=1
	v_add_u32_e32 v12, 1, v12
	v_cmp_ge_i32_e32 vcc, v12, v1
	s_or_b64 s[16:17], vcc, s[16:17]
	v_add_u32_e32 v15, s25, v15
	s_andn2_b64 exec, exec, s[16:17]
	s_cbranch_execz .LBB8_133
.LBB8_112:                              ; =>This Loop Header: Depth=1
                                        ;     Child Loop BB8_115 Depth 2
                                        ;       Child Loop BB8_118 Depth 3
                                        ;         Child Loop BB8_121 Depth 4
	s_and_b64 vcc, exec, s[2:3]
	s_cbranch_vccnz .LBB8_111
; %bb.113:                              ;   in Loop: Header=BB8_112 Depth=1
	v_mul_lo_u32 v16, v12, s15
	s_mov_b32 s35, 0
	s_mov_b32 s34, s33
	v_mov_b32_e32 v17, v15
	v_mov_b32_e32 v18, v14
	s_branch .LBB8_115
.LBB8_114:                              ;   in Loop: Header=BB8_115 Depth=2
	s_or_b64 exec, exec, s[10:11]
	s_add_i32 s34, s34, -1
	v_add_u32_e32 v18, s24, v18
	v_add_u32_e32 v17, s15, v17
	s_cmp_eq_u32 s36, s15
	s_mov_b32 s35, s36
	s_cbranch_scc1 .LBB8_111
.LBB8_115:                              ;   Parent Loop BB8_112 Depth=1
                                        ; =>  This Loop Header: Depth=2
                                        ;       Child Loop BB8_118 Depth 3
                                        ;         Child Loop BB8_121 Depth 4
	s_add_i32 s36, s35, 1
	s_and_saveexec_b64 s[10:11], s[0:1]
	s_cbranch_execz .LBB8_114
; %bb.116:                              ;   in Loop: Header=BB8_115 Depth=2
	s_cmp_lt_i32 s36, s15
	v_add_u32_e32 v4, s35, v13
	v_mul_lo_u32 v19, v4, s15
	v_add_u32_e32 v4, s35, v16
	s_cselect_b64 s[4:5], -1, 0
	v_mul_lo_u32 v20, v4, s15
	v_cndmask_b32_e64 v4, 0, 1, s[4:5]
	s_mov_b64 s[18:19], 0
	v_cmp_ne_u32_e64 s[4:5], 1, v4
	v_mov_b32_e32 v21, v17
	v_mov_b32_e32 v22, v0
	s_branch .LBB8_118
.LBB8_117:                              ;   in Loop: Header=BB8_118 Depth=3
	v_add_u32_e32 v22, 32, v22
	v_cmp_le_i32_e32 vcc, s15, v22
	s_or_b64 s[18:19], vcc, s[18:19]
	v_add_u32_e32 v21, 32, v21
	s_andn2_b64 exec, exec, s[18:19]
	s_cbranch_execz .LBB8_114
.LBB8_118:                              ;   Parent Loop BB8_112 Depth=1
                                        ;     Parent Loop BB8_115 Depth=2
                                        ; =>    This Loop Header: Depth=3
                                        ;         Child Loop BB8_121 Depth 4
	s_and_b64 vcc, exec, s[4:5]
	s_cbranch_vccnz .LBB8_117
; %bb.119:                              ;   in Loop: Header=BB8_118 Depth=3
	v_add_u32_e32 v4, v22, v16
	v_mul_lo_u32 v23, v4, s15
	v_add_u32_e32 v24, s35, v23
	v_add_u32_e32 v25, v22, v20
	s_mov_b32 s37, 0
	s_mov_b32 s38, s34
	;; [unrolled: 1-line block ×3, first 2 shown]
	s_branch .LBB8_121
.LBB8_120:                              ;   in Loop: Header=BB8_121 Depth=4
	v_ashrrev_i32_e32 v9, 31, v8
	s_add_i32 s39, s39, 1
	s_add_i32 s37, s37, s15
	s_add_i32 s38, s38, -1
	s_waitcnt vmcnt(0)
	v_fma_f64 v[4:5], -v[4:5], v[6:7], v[10:11]
	v_lshl_add_u64 v[6:7], v[8:9], 3, s[20:21]
	s_cmp_eq_u32 s38, 0
	global_store_dwordx2 v[6:7], v[4:5], off
	s_cbranch_scc1 .LBB8_117
.LBB8_121:                              ;   Parent Loop BB8_112 Depth=1
                                        ;     Parent Loop BB8_115 Depth=2
                                        ;       Parent Loop BB8_118 Depth=3
                                        ; =>      This Inner Loop Header: Depth=4
	s_and_b64 vcc, exec, s[12:13]
	s_cbranch_vccz .LBB8_129
; %bb.122:                              ;   in Loop: Header=BB8_121 Depth=4
	v_add_u32_e32 v4, s39, v19
	v_mov_b32_e32 v6, v24
	s_cbranch_execnz .LBB8_124
.LBB8_123:                              ;   in Loop: Header=BB8_121 Depth=4
	v_add_u32_e32 v4, s37, v18
	v_mov_b32_e32 v6, v25
.LBB8_124:                              ;   in Loop: Header=BB8_121 Depth=4
	v_ashrrev_i32_e32 v5, 31, v4
	v_lshl_add_u64 v[8:9], v[4:5], 3, s[20:21]
	v_ashrrev_i32_e32 v7, 31, v6
	v_lshl_add_u64 v[10:11], v[6:7], 3, s[20:21]
	global_load_dwordx2 v[4:5], v[8:9], off
	global_load_dwordx2 v[6:7], v[10:11], off
	s_and_b64 vcc, exec, s[12:13]
	v_add_u32_e32 v8, s39, v23
	s_cbranch_vccz .LBB8_130
; %bb.125:                              ;   in Loop: Header=BB8_121 Depth=4
	v_add_u32_e32 v10, s39, v23
	v_add_u32_e32 v9, s37, v21
	s_cbranch_execnz .LBB8_127
.LBB8_126:                              ;   in Loop: Header=BB8_121 Depth=4
	v_add_u32_e32 v10, s37, v21
.LBB8_127:                              ;   in Loop: Header=BB8_121 Depth=4
	v_ashrrev_i32_e32 v11, 31, v10
	v_lshl_add_u64 v[10:11], v[10:11], 3, s[20:21]
	global_load_dwordx2 v[10:11], v[10:11], off
	s_and_b64 vcc, exec, s[12:13]
	s_cbranch_vccz .LBB8_131
; %bb.128:                              ;   in Loop: Header=BB8_121 Depth=4
	s_cbranch_execnz .LBB8_120
	s_branch .LBB8_132
.LBB8_129:                              ;   in Loop: Header=BB8_121 Depth=4
                                        ; implicit-def: $vgpr4
	v_mov_b32_e32 v6, v24
	s_branch .LBB8_123
.LBB8_130:                              ;   in Loop: Header=BB8_121 Depth=4
                                        ; implicit-def: $vgpr10
	v_add_u32_e32 v9, s37, v21
	s_branch .LBB8_126
.LBB8_131:                              ;   in Loop: Header=BB8_121 Depth=4
                                        ; implicit-def: $vgpr8
.LBB8_132:                              ;   in Loop: Header=BB8_121 Depth=4
	v_mov_b32_e32 v8, v9
	s_branch .LBB8_120
.LBB8_133:
	s_or_b64 exec, exec, s[6:7]
	s_orn2_b64 s[2:3], s[8:9], exec
.LBB8_134:
	s_or_b64 exec, exec, s[30:31]
	v_cmp_eq_u32_e32 vcc, 0, v0
	s_and_b64 exec, exec, vcc
	s_cbranch_execz .LBB8_140
; %bb.135:
	v_lshl_add_u64 v[0:1], v[2:3], 2, s[28:29]
	v_mov_b32_e32 v3, 1
	buffer_wbl2 sc1
	s_waitcnt vmcnt(0)
	global_store_dword v[0:1], v3, off sc1
	s_and_b64 exec, exec, s[2:3]
	s_cbranch_execz .LBB8_140
; %bb.136:
	s_mov_b64 s[0:1], exec
	v_add_u32_e32 v0, s14, v2
	s_brev_b32 s2, -2
.LBB8_137:                              ; =>This Inner Loop Header: Depth=1
	s_ff1_i32_b64 s3, s[0:1]
	v_readlane_b32 s6, v0, s3
	s_lshl_b64 s[4:5], 1, s3
	s_min_i32 s2, s2, s6
	s_andn2_b64 s[0:1], s[0:1], s[4:5]
	s_cmp_lg_u64 s[0:1], 0
	s_cbranch_scc1 .LBB8_137
; %bb.138:
	v_mbcnt_lo_u32_b32 v0, exec_lo, 0
	v_mbcnt_hi_u32_b32 v0, exec_hi, v0
	v_cmp_eq_u32_e32 vcc, 0, v0
	s_and_saveexec_b64 s[0:1], vcc
	s_xor_b64 s[0:1], exec, s[0:1]
	s_cbranch_execz .LBB8_140
; %bb.139:
	v_mov_b32_e32 v0, 0
	v_mov_b32_e32 v1, s2
	global_atomic_smin v0, v1, s[26:27]
.LBB8_140:
	s_endpgm
	.section	.rodata,"a",@progbits
	.p2align	6, 0x0
	.amdhsa_kernel _ZN9rocsparseL15bsrilu0_generalILj128ELj32ELb0EdEEv20rocsparse_direction_iPKiS3_PT2_S3_iPiS3_S6_21rocsparse_index_base_imNS_24const_host_device_scalarIfEENS8_IdEENS8_IS4_EEb
		.amdhsa_group_segment_fixed_size 0
		.amdhsa_private_segment_fixed_size 0
		.amdhsa_kernarg_size 116
		.amdhsa_user_sgpr_count 2
		.amdhsa_user_sgpr_dispatch_ptr 0
		.amdhsa_user_sgpr_queue_ptr 0
		.amdhsa_user_sgpr_kernarg_segment_ptr 1
		.amdhsa_user_sgpr_dispatch_id 0
		.amdhsa_user_sgpr_kernarg_preload_length 0
		.amdhsa_user_sgpr_kernarg_preload_offset 0
		.amdhsa_user_sgpr_private_segment_size 0
		.amdhsa_uses_dynamic_stack 0
		.amdhsa_enable_private_segment 0
		.amdhsa_system_sgpr_workgroup_id_x 1
		.amdhsa_system_sgpr_workgroup_id_y 0
		.amdhsa_system_sgpr_workgroup_id_z 0
		.amdhsa_system_sgpr_workgroup_info 0
		.amdhsa_system_vgpr_workitem_id 0
		.amdhsa_next_free_vgpr 42
		.amdhsa_next_free_sgpr 68
		.amdhsa_accum_offset 44
		.amdhsa_reserve_vcc 1
		.amdhsa_float_round_mode_32 0
		.amdhsa_float_round_mode_16_64 0
		.amdhsa_float_denorm_mode_32 3
		.amdhsa_float_denorm_mode_16_64 3
		.amdhsa_dx10_clamp 1
		.amdhsa_ieee_mode 1
		.amdhsa_fp16_overflow 0
		.amdhsa_tg_split 0
		.amdhsa_exception_fp_ieee_invalid_op 0
		.amdhsa_exception_fp_denorm_src 0
		.amdhsa_exception_fp_ieee_div_zero 0
		.amdhsa_exception_fp_ieee_overflow 0
		.amdhsa_exception_fp_ieee_underflow 0
		.amdhsa_exception_fp_ieee_inexact 0
		.amdhsa_exception_int_div_zero 0
	.end_amdhsa_kernel
	.section	.text._ZN9rocsparseL15bsrilu0_generalILj128ELj32ELb0EdEEv20rocsparse_direction_iPKiS3_PT2_S3_iPiS3_S6_21rocsparse_index_base_imNS_24const_host_device_scalarIfEENS8_IdEENS8_IS4_EEb,"axG",@progbits,_ZN9rocsparseL15bsrilu0_generalILj128ELj32ELb0EdEEv20rocsparse_direction_iPKiS3_PT2_S3_iPiS3_S6_21rocsparse_index_base_imNS_24const_host_device_scalarIfEENS8_IdEENS8_IS4_EEb,comdat
.Lfunc_end8:
	.size	_ZN9rocsparseL15bsrilu0_generalILj128ELj32ELb0EdEEv20rocsparse_direction_iPKiS3_PT2_S3_iPiS3_S6_21rocsparse_index_base_imNS_24const_host_device_scalarIfEENS8_IdEENS8_IS4_EEb, .Lfunc_end8-_ZN9rocsparseL15bsrilu0_generalILj128ELj32ELb0EdEEv20rocsparse_direction_iPKiS3_PT2_S3_iPiS3_S6_21rocsparse_index_base_imNS_24const_host_device_scalarIfEENS8_IdEENS8_IS4_EEb
                                        ; -- End function
	.set _ZN9rocsparseL15bsrilu0_generalILj128ELj32ELb0EdEEv20rocsparse_direction_iPKiS3_PT2_S3_iPiS3_S6_21rocsparse_index_base_imNS_24const_host_device_scalarIfEENS8_IdEENS8_IS4_EEb.num_vgpr, 42
	.set _ZN9rocsparseL15bsrilu0_generalILj128ELj32ELb0EdEEv20rocsparse_direction_iPKiS3_PT2_S3_iPiS3_S6_21rocsparse_index_base_imNS_24const_host_device_scalarIfEENS8_IdEENS8_IS4_EEb.num_agpr, 0
	.set _ZN9rocsparseL15bsrilu0_generalILj128ELj32ELb0EdEEv20rocsparse_direction_iPKiS3_PT2_S3_iPiS3_S6_21rocsparse_index_base_imNS_24const_host_device_scalarIfEENS8_IdEENS8_IS4_EEb.numbered_sgpr, 68
	.set _ZN9rocsparseL15bsrilu0_generalILj128ELj32ELb0EdEEv20rocsparse_direction_iPKiS3_PT2_S3_iPiS3_S6_21rocsparse_index_base_imNS_24const_host_device_scalarIfEENS8_IdEENS8_IS4_EEb.num_named_barrier, 0
	.set _ZN9rocsparseL15bsrilu0_generalILj128ELj32ELb0EdEEv20rocsparse_direction_iPKiS3_PT2_S3_iPiS3_S6_21rocsparse_index_base_imNS_24const_host_device_scalarIfEENS8_IdEENS8_IS4_EEb.private_seg_size, 0
	.set _ZN9rocsparseL15bsrilu0_generalILj128ELj32ELb0EdEEv20rocsparse_direction_iPKiS3_PT2_S3_iPiS3_S6_21rocsparse_index_base_imNS_24const_host_device_scalarIfEENS8_IdEENS8_IS4_EEb.uses_vcc, 1
	.set _ZN9rocsparseL15bsrilu0_generalILj128ELj32ELb0EdEEv20rocsparse_direction_iPKiS3_PT2_S3_iPiS3_S6_21rocsparse_index_base_imNS_24const_host_device_scalarIfEENS8_IdEENS8_IS4_EEb.uses_flat_scratch, 0
	.set _ZN9rocsparseL15bsrilu0_generalILj128ELj32ELb0EdEEv20rocsparse_direction_iPKiS3_PT2_S3_iPiS3_S6_21rocsparse_index_base_imNS_24const_host_device_scalarIfEENS8_IdEENS8_IS4_EEb.has_dyn_sized_stack, 0
	.set _ZN9rocsparseL15bsrilu0_generalILj128ELj32ELb0EdEEv20rocsparse_direction_iPKiS3_PT2_S3_iPiS3_S6_21rocsparse_index_base_imNS_24const_host_device_scalarIfEENS8_IdEENS8_IS4_EEb.has_recursion, 0
	.set _ZN9rocsparseL15bsrilu0_generalILj128ELj32ELb0EdEEv20rocsparse_direction_iPKiS3_PT2_S3_iPiS3_S6_21rocsparse_index_base_imNS_24const_host_device_scalarIfEENS8_IdEENS8_IS4_EEb.has_indirect_call, 0
	.section	.AMDGPU.csdata,"",@progbits
; Kernel info:
; codeLenInByte = 3620
; TotalNumSgprs: 74
; NumVgprs: 42
; NumAgprs: 0
; TotalNumVgprs: 42
; ScratchSize: 0
; MemoryBound: 0
; FloatMode: 240
; IeeeMode: 1
; LDSByteSize: 0 bytes/workgroup (compile time only)
; SGPRBlocks: 9
; VGPRBlocks: 5
; NumSGPRsForWavesPerEU: 74
; NumVGPRsForWavesPerEU: 42
; AccumOffset: 44
; Occupancy: 8
; WaveLimiterHint : 1
; COMPUTE_PGM_RSRC2:SCRATCH_EN: 0
; COMPUTE_PGM_RSRC2:USER_SGPR: 2
; COMPUTE_PGM_RSRC2:TRAP_HANDLER: 0
; COMPUTE_PGM_RSRC2:TGID_X_EN: 1
; COMPUTE_PGM_RSRC2:TGID_Y_EN: 0
; COMPUTE_PGM_RSRC2:TGID_Z_EN: 0
; COMPUTE_PGM_RSRC2:TIDIG_COMP_CNT: 0
; COMPUTE_PGM_RSRC3_GFX90A:ACCUM_OFFSET: 10
; COMPUTE_PGM_RSRC3_GFX90A:TG_SPLIT: 0
	.section	.text._ZN9rocsparseL11bsrilu0_2_8ILj64ELj64ELj8EdEEv20rocsparse_direction_iPKiS3_PT2_S3_iPiS3_S6_21rocsparse_index_base_imNS_24const_host_device_scalarIfEENS8_IdEENS8_IS4_EEb,"axG",@progbits,_ZN9rocsparseL11bsrilu0_2_8ILj64ELj64ELj8EdEEv20rocsparse_direction_iPKiS3_PT2_S3_iPiS3_S6_21rocsparse_index_base_imNS_24const_host_device_scalarIfEENS8_IdEENS8_IS4_EEb,comdat
	.globl	_ZN9rocsparseL11bsrilu0_2_8ILj64ELj64ELj8EdEEv20rocsparse_direction_iPKiS3_PT2_S3_iPiS3_S6_21rocsparse_index_base_imNS_24const_host_device_scalarIfEENS8_IdEENS8_IS4_EEb ; -- Begin function _ZN9rocsparseL11bsrilu0_2_8ILj64ELj64ELj8EdEEv20rocsparse_direction_iPKiS3_PT2_S3_iPiS3_S6_21rocsparse_index_base_imNS_24const_host_device_scalarIfEENS8_IdEENS8_IS4_EEb
	.p2align	8
	.type	_ZN9rocsparseL11bsrilu0_2_8ILj64ELj64ELj8EdEEv20rocsparse_direction_iPKiS3_PT2_S3_iPiS3_S6_21rocsparse_index_base_imNS_24const_host_device_scalarIfEENS8_IdEENS8_IS4_EEb,@function
_ZN9rocsparseL11bsrilu0_2_8ILj64ELj64ELj8EdEEv20rocsparse_direction_iPKiS3_PT2_S3_iPiS3_S6_21rocsparse_index_base_imNS_24const_host_device_scalarIfEENS8_IdEENS8_IS4_EEb: ; @_ZN9rocsparseL11bsrilu0_2_8ILj64ELj64ELj8EdEEv20rocsparse_direction_iPKiS3_PT2_S3_iPiS3_S6_21rocsparse_index_base_imNS_24const_host_device_scalarIfEENS8_IdEENS8_IS4_EEb
; %bb.0:
	s_load_dword s3, s[0:1], 0x70
	s_load_dwordx2 s[14:15], s[0:1], 0x48
	s_load_dwordx8 s[24:31], s[0:1], 0x50
	s_waitcnt lgkmcnt(0)
	s_bitcmp1_b32 s3, 0
	s_cselect_b64 s[4:5], -1, 0
	s_cmp_eq_u32 s15, 0
	s_cselect_b64 s[6:7], -1, 0
	s_cmp_lg_u32 s15, 0
	s_cselect_b64 s[42:43], -1, 0
	s_or_b64 s[4:5], s[6:7], s[4:5]
	s_xor_b64 s[8:9], s[4:5], -1
	s_and_b64 s[10:11], s[6:7], exec
	s_cselect_b32 s11, 0, s29
	s_cselect_b32 s10, 0, s28
	s_and_b64 vcc, exec, s[4:5]
	s_cbranch_vccnz .LBB9_2
; %bb.1:
	s_load_dword s3, s[26:27], 0x0
	s_mov_b64 s[10:11], s[28:29]
	s_waitcnt lgkmcnt(0)
	v_mov_b32_e32 v7, s3
	s_branch .LBB9_3
.LBB9_2:
	v_mov_b32_e32 v1, s26
	v_cndmask_b32_e64 v7, v1, 0, s[6:7]
.LBB9_3:
	v_cndmask_b32_e64 v1, 0, 1, s[8:9]
	v_cmp_ne_u32_e64 s[4:5], 1, v1
	s_andn2_b64 vcc, exec, s[8:9]
	v_mov_b64_e32 v[4:5], s[10:11]
	s_cbranch_vccnz .LBB9_5
; %bb.4:
	v_mov_b64_e32 v[2:3], s[28:29]
	flat_load_dwordx2 v[4:5], v[2:3]
.LBB9_5:
	s_and_b64 s[6:7], s[6:7], exec
	s_cselect_b32 s7, 0, s31
	s_cselect_b32 s6, 0, s30
	s_mov_b32 s3, 0
	s_and_b64 vcc, exec, s[4:5]
	v_mov_b64_e32 v[2:3], s[6:7]
	s_cbranch_vccnz .LBB9_7
; %bb.6:
	v_mov_b64_e32 v[2:3], s[30:31]
	flat_load_dwordx2 v[2:3], v[2:3]
.LBB9_7:
	s_load_dwordx4 s[28:31], s[0:1], 0x30
	s_load_dwordx2 s[26:27], s[0:1], 0x40
	s_lshl_b64 s[2:3], s[2:3], 2
	s_waitcnt lgkmcnt(0)
	s_add_u32 s2, s30, s2
	s_addc_u32 s3, s31, s3
	s_load_dword s30, s[2:3], 0x0
	s_load_dwordx8 s[16:23], s[0:1], 0x8
	s_waitcnt lgkmcnt(0)
	s_ashr_i32 s31, s30, 31
	s_lshl_b64 s[34:35], s[30:31], 2
	s_add_u32 s2, s22, s34
	s_addc_u32 s3, s23, s35
	s_load_dword s38, s[2:3], 0x0
	s_waitcnt lgkmcnt(0)
	s_cmp_eq_u32 s38, -1
	s_cbranch_scc1 .LBB9_81
; %bb.8:
	s_add_u32 s2, s16, s34
	s_addc_u32 s3, s17, s35
	s_load_dwordx2 s[4:5], s[2:3], 0x0
	s_load_dwordx2 s[40:41], s[0:1], 0x0
	s_load_dword s15, s[0:1], 0x28
	v_bfe_u32 v1, v0, 10, 10
	s_mov_b64 s[36:37], 0
	s_waitcnt lgkmcnt(0)
	s_sub_i32 s44, s4, s14
	s_sub_i32 s31, s5, s14
	s_cmp_ge_i32 s44, s38
	v_add_u32_e32 v16, 1, v1
	s_cbranch_scc1 .LBB9_59
; %bb.9:
	s_cmp_eq_u32 s40, 0
	s_cselect_b64 vcc, -1, 0
	s_cmp_gt_i32 s15, 0
	s_cselect_b64 s[4:5], -1, 0
	s_add_u32 s0, s0, 0x78
	v_and_b32_e32 v8, 0x3ff, v0
	s_addc_u32 s1, s1, 0
	s_add_i32 s39, s41, 1
	v_max_u32_e32 v10, v8, v1
	s_cmp_lg_u32 s15, 1
	s_movk_i32 s33, 0x48
	v_lshlrev_b32_e32 v6, 3, v8
	v_cmp_gt_u32_e64 s[12:13], s15, v10
	s_cselect_b64 s[6:7], -1, 0
	s_and_b32 s41, s15, 0x7ffffffe
	v_cndmask_b32_e64 v10, 0, 1, s[4:5]
	v_add_u32_e32 v17, 0x240, v6
	v_mad_u32_u24 v19, v1, s33, v6
	s_bitcmp1_b32 s15, 0
	v_cndmask_b32_e64 v11, 0, 1, s[6:7]
	v_cmp_ne_u32_e64 s[4:5], 1, v10
	v_mbcnt_lo_u32_b32 v10, -1, 0
	v_mul_u32_u24_e32 v9, 0x48, v1
	v_mad_u32_u24 v18, v1, s33, v17
	v_cmp_eq_u32_e64 s[2:3], 0, v1
	v_add_u32_e32 v20, s44, v8
	v_cndmask_b32_e32 v6, v1, v8, vcc
	v_cndmask_b32_e32 v8, v8, v1, vcc
	s_cselect_b64 s[46:47], -1, 0
	v_add_u32_e32 v21, 1, v1
	v_mad_u32_u24 v22, v1, s33, s33
	v_add_u32_e32 v23, 0x288, v19
	v_mov_b32_e32 v24, 0
	v_cmp_ne_u32_e64 s[6:7], 1, v11
	v_mbcnt_hi_u32_b32 v25, -1, v10
	s_branch .LBB9_12
.LBB9_10:                               ;   in Loop: Header=BB9_12 Depth=1
	s_mov_b64 s[36:37], -1
.LBB9_11:                               ;   in Loop: Header=BB9_12 Depth=1
	s_add_i32 s44, s44, 1
	s_cmp_lt_i32 s44, s38
	s_cselect_b64 s[10:11], -1, 0
	s_and_b64 s[8:9], s[8:9], s[10:11]
	s_and_b64 vcc, exec, s[8:9]
	s_cbranch_vccz .LBB9_59
.LBB9_12:                               ; =>This Loop Header: Depth=1
                                        ;     Child Loop BB9_16 Depth 2
                                        ;     Child Loop BB9_23 Depth 2
	;; [unrolled: 1-line block ×3, first 2 shown]
                                        ;       Child Loop BB9_48 Depth 3
                                        ;       Child Loop BB9_56 Depth 3
	s_ashr_i32 s45, s44, 31
	s_lshl_b64 s[8:9], s[44:45], 2
	s_add_u32 s8, s18, s8
	s_addc_u32 s9, s19, s9
	global_load_dword v10, v24, s[8:9]
	s_waitcnt vmcnt(0)
	v_readfirstlane_b32 s10, v10
	v_mov_b64_e32 v[10:11], 0
	s_and_saveexec_b64 s[8:9], s[12:13]
	s_cbranch_execz .LBB9_14
; %bb.13:                               ;   in Loop: Header=BB9_12 Depth=1
	s_mul_i32 s11, s44, s15
	v_add_u32_e32 v10, s11, v6
	v_mad_u64_u32 v[10:11], s[48:49], v10, s15, v[8:9]
	v_mov_b32_e32 v11, v24
	v_lshl_add_u64 v[10:11], v[10:11], 3, s[20:21]
	global_load_dwordx2 v[10:11], v[10:11], off
.LBB9_14:                               ;   in Loop: Header=BB9_12 Depth=1
	s_or_b64 exec, exec, s[8:9]
	s_sub_i32 s8, s10, s14
	s_ashr_i32 s9, s8, 31
	s_lshl_b64 s[10:11], s[8:9], 2
	s_add_u32 s8, s22, s10
	s_addc_u32 s9, s23, s11
	global_load_dword v12, v24, s[8:9]
	s_waitcnt vmcnt(1)
	ds_write_b64 v18, v[10:11]
	s_waitcnt vmcnt(0)
	v_cmp_eq_u32_e32 vcc, -1, v12
	v_readfirstlane_b32 s45, v12
	v_cmp_ne_u32_e64 s[8:9], -1, v12
	s_cbranch_vccnz .LBB9_10
; %bb.15:                               ;   in Loop: Header=BB9_12 Depth=1
	s_add_u32 s48, s16, s10
	s_addc_u32 s49, s17, s11
	global_load_dword v10, v24, s[48:49] offset:4
	s_add_u32 s10, s28, s10
	s_addc_u32 s11, s29, s11
	s_waitcnt vmcnt(0)
	v_readfirstlane_b32 s48, v10
.LBB9_16:                               ;   Parent Loop BB9_12 Depth=1
                                        ; =>  This Inner Loop Header: Depth=2
	global_load_dword v10, v24, s[10:11] sc1
	s_waitcnt vmcnt(0)
	v_cmp_eq_u32_e32 vcc, 0, v10
	s_cbranch_vccnz .LBB9_16
; %bb.17:                               ;   in Loop: Header=BB9_12 Depth=1
	v_mov_b64_e32 v[10:11], 0
	s_waitcnt lgkmcnt(0)
	buffer_inv sc1
	s_and_saveexec_b64 s[10:11], s[12:13]
	s_cbranch_execz .LBB9_19
; %bb.18:                               ;   in Loop: Header=BB9_12 Depth=1
	s_mul_i32 s49, s45, s15
	v_add_u32_e32 v10, s49, v6
	v_mad_u64_u32 v[10:11], s[50:51], v10, s15, v[8:9]
	v_mov_b32_e32 v11, v24
	v_lshl_add_u64 v[10:11], v[10:11], 3, s[20:21]
	global_load_dwordx2 v[10:11], v[10:11], off
.LBB9_19:                               ;   in Loop: Header=BB9_12 Depth=1
	s_or_b64 exec, exec, s[10:11]
	s_and_b64 vcc, exec, s[4:5]
	s_waitcnt vmcnt(0)
	ds_write_b64 v19, v[10:11]
	s_waitcnt lgkmcnt(0)
	s_cbranch_vccnz .LBB9_37
; %bb.20:                               ;   in Loop: Header=BB9_12 Depth=1
	s_and_b64 vcc, exec, s[6:7]
	s_mov_b32 s51, 0
	s_cbranch_vccnz .LBB9_31
; %bb.21:                               ;   in Loop: Header=BB9_12 Depth=1
	s_mov_b32 s49, 0
	v_mov_b32_e32 v12, v17
	v_mov_b32_e32 v13, v23
	v_mov_b32_e32 v14, v22
	s_mov_b32 s50, 0
	s_branch .LBB9_23
.LBB9_22:                               ;   in Loop: Header=BB9_23 Depth=2
	s_or_b64 exec, exec, s[10:11]
	s_add_i32 s50, s50, 2
	s_addk_i32 s49, 0xa0
	v_add_u32_e32 v14, 0xa0, v14
	v_add_u32_e32 v13, 0x90, v13
	;; [unrolled: 1-line block ×3, first 2 shown]
	s_cmp_eq_u32 s41, s50
	s_mov_b32 s51, s41
	s_waitcnt lgkmcnt(0)
	s_cbranch_scc1 .LBB9_31
.LBB9_23:                               ;   Parent Loop BB9_12 Depth=1
                                        ; =>  This Inner Loop Header: Depth=2
	v_mov_b32_e32 v10, s49
	ds_read_b64 v[10:11], v10
	ds_read_b64 v[26:27], v12
	s_waitcnt lgkmcnt(0)
	v_div_scale_f64 v[28:29], s[10:11], v[10:11], v[10:11], v[26:27]
	v_rcp_f64_e32 v[30:31], v[28:29]
	v_div_scale_f64 v[32:33], vcc, v[26:27], v[10:11], v[26:27]
	v_fma_f64 v[34:35], -v[28:29], v[30:31], 1.0
	v_fmac_f64_e32 v[30:31], v[30:31], v[34:35]
	v_fma_f64 v[34:35], -v[28:29], v[30:31], 1.0
	v_fmac_f64_e32 v[30:31], v[30:31], v[34:35]
	v_mul_f64 v[34:35], v[32:33], v[30:31]
	v_fma_f64 v[28:29], -v[28:29], v[34:35], v[32:33]
	v_div_fmas_f64 v[28:29], v[28:29], v[30:31], v[34:35]
	v_div_fixup_f64 v[10:11], v[28:29], v[10:11], v[26:27]
	s_and_saveexec_b64 s[10:11], s[2:3]
; %bb.24:                               ;   in Loop: Header=BB9_23 Depth=2
	ds_write_b64 v12, v[10:11]
; %bb.25:                               ;   in Loop: Header=BB9_23 Depth=2
	s_or_b64 exec, exec, s[10:11]
	v_add_u32_e32 v15, s50, v1
	v_add_u32_e32 v26, 1, v15
	v_cmp_gt_i32_e32 vcc, s15, v26
	s_and_saveexec_b64 s[10:11], vcc
	s_cbranch_execz .LBB9_27
; %bb.26:                               ;   in Loop: Header=BB9_23 Depth=2
	ds_read_b64 v[26:27], v14
	ds_read_b64 v[28:29], v13
	s_waitcnt lgkmcnt(0)
	v_fma_f64 v[10:11], -v[10:11], v[26:27], v[28:29]
	ds_write_b64 v13, v[10:11]
.LBB9_27:                               ;   in Loop: Header=BB9_23 Depth=2
	s_or_b64 exec, exec, s[10:11]
	v_mov_b32_e32 v10, s49
	s_waitcnt lgkmcnt(0)
	ds_read_b64 v[10:11], v10 offset:80
	ds_read_b64 v[26:27], v12 offset:72
	s_waitcnt lgkmcnt(0)
	v_div_scale_f64 v[28:29], s[10:11], v[10:11], v[10:11], v[26:27]
	v_rcp_f64_e32 v[30:31], v[28:29]
	v_div_scale_f64 v[32:33], vcc, v[26:27], v[10:11], v[26:27]
	v_fma_f64 v[34:35], -v[28:29], v[30:31], 1.0
	v_fmac_f64_e32 v[30:31], v[30:31], v[34:35]
	v_fma_f64 v[34:35], -v[28:29], v[30:31], 1.0
	v_fmac_f64_e32 v[30:31], v[30:31], v[34:35]
	v_mul_f64 v[34:35], v[32:33], v[30:31]
	v_fma_f64 v[28:29], -v[28:29], v[34:35], v[32:33]
	v_div_fmas_f64 v[28:29], v[28:29], v[30:31], v[34:35]
	v_div_fixup_f64 v[10:11], v[28:29], v[10:11], v[26:27]
	s_and_saveexec_b64 s[10:11], s[2:3]
; %bb.28:                               ;   in Loop: Header=BB9_23 Depth=2
	ds_write_b64 v12, v[10:11] offset:72
; %bb.29:                               ;   in Loop: Header=BB9_23 Depth=2
	s_or_b64 exec, exec, s[10:11]
	v_add_u32_e32 v15, 2, v15
	v_cmp_gt_i32_e32 vcc, s15, v15
	s_and_saveexec_b64 s[10:11], vcc
	s_cbranch_execz .LBB9_22
; %bb.30:                               ;   in Loop: Header=BB9_23 Depth=2
	ds_read_b64 v[26:27], v14 offset:80
	ds_read_b64 v[28:29], v13 offset:72
	s_waitcnt lgkmcnt(0)
	v_fma_f64 v[10:11], -v[10:11], v[26:27], v[28:29]
	ds_write_b64 v13, v[10:11] offset:72
	s_branch .LBB9_22
.LBB9_31:                               ;   in Loop: Header=BB9_12 Depth=1
	s_andn2_b64 vcc, exec, s[46:47]
	s_cbranch_vccnz .LBB9_37
; %bb.32:                               ;   in Loop: Header=BB9_12 Depth=1
	s_mul_i32 s10, s51, 0x48
	s_lshl_b32 s11, s51, 3
	s_add_i32 s49, s10, s11
	v_mov_b32_e32 v10, s49
	v_add_u32_e32 v12, s10, v17
	ds_read_b64 v[10:11], v10
	ds_read_b64 v[14:15], v12
	s_waitcnt lgkmcnt(0)
	v_div_scale_f64 v[26:27], s[10:11], v[10:11], v[10:11], v[14:15]
	v_rcp_f64_e32 v[28:29], v[26:27]
	v_div_scale_f64 v[30:31], vcc, v[14:15], v[10:11], v[14:15]
	v_fma_f64 v[32:33], -v[26:27], v[28:29], 1.0
	v_fmac_f64_e32 v[28:29], v[28:29], v[32:33]
	v_fma_f64 v[32:33], -v[26:27], v[28:29], 1.0
	v_fmac_f64_e32 v[28:29], v[28:29], v[32:33]
	v_mul_f64 v[32:33], v[30:31], v[28:29]
	v_fma_f64 v[26:27], -v[26:27], v[32:33], v[30:31]
	v_div_fmas_f64 v[26:27], v[26:27], v[28:29], v[32:33]
	v_div_fixup_f64 v[10:11], v[26:27], v[10:11], v[14:15]
	s_and_saveexec_b64 s[10:11], s[2:3]
; %bb.33:                               ;   in Loop: Header=BB9_12 Depth=1
	ds_write_b64 v12, v[10:11]
; %bb.34:                               ;   in Loop: Header=BB9_12 Depth=1
	s_or_b64 exec, exec, s[10:11]
	v_add_u32_e32 v13, s51, v21
	v_cmp_gt_i32_e32 vcc, s15, v13
	s_and_saveexec_b64 s[10:11], vcc
	s_cbranch_execz .LBB9_36
; %bb.35:                               ;   in Loop: Header=BB9_12 Depth=1
	v_mov_b32_e32 v13, s49
	v_mad_u32_u24 v13, v1, s33, v13
	v_mad_u32_u24 v26, v1, s33, v12
	ds_read_b64 v[12:13], v13 offset:72
	ds_read_b64 v[14:15], v26 offset:72
	s_waitcnt lgkmcnt(0)
	v_fma_f64 v[10:11], -v[10:11], v[12:13], v[14:15]
	ds_write_b64 v26, v[10:11] offset:72
.LBB9_36:                               ;   in Loop: Header=BB9_12 Depth=1
	s_or_b64 exec, exec, s[10:11]
	s_waitcnt lgkmcnt(0)
.LBB9_37:                               ;   in Loop: Header=BB9_12 Depth=1
	s_and_saveexec_b64 s[10:11], s[12:13]
	s_cbranch_execz .LBB9_39
; %bb.38:                               ;   in Loop: Header=BB9_12 Depth=1
	ds_read_b64 v[10:11], v18
	s_mul_i32 s49, s44, s15
	v_add_u32_e32 v12, s49, v6
	v_mad_u64_u32 v[12:13], s[50:51], v12, s15, v[8:9]
	v_mov_b32_e32 v13, v24
	v_lshl_add_u64 v[12:13], v[12:13], 3, s[20:21]
	s_waitcnt lgkmcnt(0)
	global_store_dwordx2 v[12:13], v[10:11], off
.LBB9_39:                               ;   in Loop: Header=BB9_12 Depth=1
	s_or_b64 exec, exec, s[10:11]
	s_sub_i32 s56, s48, s14
	s_add_i32 s48, s45, 1
	s_cmp_ge_i32 s48, s56
	s_cbranch_scc1 .LBB9_11
; %bb.40:                               ;   in Loop: Header=BB9_12 Depth=1
	s_load_dword s10, s[0:1], 0xc
	s_waitcnt lgkmcnt(0)
	s_and_b32 s10, s10, 0xffff
	v_mad_u32_u24 v10, v1, s10, v20
	v_ashrrev_i32_e32 v11, 31, v10
	v_cmp_gt_i32_e64 s[10:11], s31, v10
	v_lshl_add_u64 v[12:13], v[10:11], 2, s[18:19]
	s_branch .LBB9_43
.LBB9_41:                               ;   in Loop: Header=BB9_43 Depth=2
	s_or_b64 exec, exec, s[50:51]
.LBB9_42:                               ;   in Loop: Header=BB9_43 Depth=2
	s_add_i32 s48, s48, 1
	s_cmp_lt_i32 s48, s56
	s_cbranch_scc0 .LBB9_11
.LBB9_43:                               ;   Parent Loop BB9_12 Depth=1
                                        ; =>  This Loop Header: Depth=2
                                        ;       Child Loop BB9_48 Depth 3
                                        ;       Child Loop BB9_56 Depth 3
	s_ashr_i32 s49, s48, 31
	s_lshl_b64 s[50:51], s[48:49], 2
	s_add_u32 s50, s18, s50
	s_addc_u32 s51, s19, s51
	global_load_dword v11, v24, s[50:51]
	v_mov_b32_e32 v15, s39
	s_and_saveexec_b64 s[50:51], s[10:11]
	s_cbranch_execz .LBB9_45
; %bb.44:                               ;   in Loop: Header=BB9_43 Depth=2
	global_load_dword v14, v[12:13], off
	s_waitcnt vmcnt(0)
	v_subrev_u32_e32 v15, s14, v14
.LBB9_45:                               ;   in Loop: Header=BB9_43 Depth=2
	s_or_b64 exec, exec, s[50:51]
	s_waitcnt vmcnt(0)
	v_subrev_u32_e32 v11, s14, v11
	v_cmp_lt_i32_e32 vcc, v15, v11
	v_mov_b32_e32 v26, v10
	s_and_saveexec_b64 s[50:51], vcc
	s_cbranch_execz .LBB9_51
; %bb.46:                               ;   in Loop: Header=BB9_43 Depth=2
	s_mov_b64 s[52:53], 0
	v_mov_b32_e32 v14, v10
	s_branch .LBB9_48
.LBB9_47:                               ;   in Loop: Header=BB9_48 Depth=3
	s_or_b64 exec, exec, s[54:55]
	v_cmp_ge_i32_e32 vcc, v15, v11
	s_or_b64 s[52:53], vcc, s[52:53]
	v_mov_b32_e32 v14, v26
	s_andn2_b64 exec, exec, s[52:53]
	s_cbranch_execz .LBB9_50
.LBB9_48:                               ;   Parent Loop BB9_12 Depth=1
                                        ;     Parent Loop BB9_43 Depth=2
                                        ; =>    This Inner Loop Header: Depth=3
	v_add_u32_e32 v26, 64, v14
	v_cmp_gt_i32_e32 vcc, s31, v26
	v_mov_b32_e32 v15, s39
	s_and_saveexec_b64 s[54:55], vcc
	s_cbranch_execz .LBB9_47
; %bb.49:                               ;   in Loop: Header=BB9_48 Depth=3
	v_ashrrev_i32_e32 v15, 31, v14
	v_lshl_add_u64 v[14:15], v[14:15], 2, s[18:19]
	global_load_dword v14, v[14:15], off offset:256
	s_waitcnt vmcnt(0)
	v_subrev_u32_e32 v15, s14, v14
	s_branch .LBB9_47
.LBB9_50:                               ;   in Loop: Header=BB9_43 Depth=2
	s_or_b64 exec, exec, s[52:53]
.LBB9_51:                               ;   in Loop: Header=BB9_43 Depth=2
	s_or_b64 exec, exec, s[50:51]
	v_cmp_eq_u32_e32 vcc, v15, v11
	s_cbranch_vccz .LBB9_42
; %bb.52:                               ;   in Loop: Header=BB9_43 Depth=2
	s_ff1_i32_b64 s45, vcc
	v_and_or_b32 v11, v25, 64, s45
	v_lshlrev_b32_e32 v11, 2, v11
	ds_bpermute_b32 v11, v11, v26
	v_mov_b64_e32 v[14:15], 0
	v_mov_b64_e32 v[26:27], 0
	s_and_saveexec_b64 s[50:51], s[12:13]
	s_cbranch_execz .LBB9_54
; %bb.53:                               ;   in Loop: Header=BB9_43 Depth=2
	s_mul_i32 s45, s48, s15
	v_add_u32_e32 v26, s45, v6
	v_mad_u64_u32 v[26:27], s[52:53], v26, s15, v[8:9]
	v_mov_b32_e32 v27, v24
	v_lshl_add_u64 v[26:27], v[26:27], 3, s[20:21]
	global_load_dwordx2 v[26:27], v[26:27], off
.LBB9_54:                               ;   in Loop: Header=BB9_43 Depth=2
	s_or_b64 exec, exec, s[50:51]
	s_and_b64 vcc, exec, s[4:5]
	s_waitcnt vmcnt(0)
	ds_write_b64 v19, v[26:27]
	s_waitcnt lgkmcnt(0)
	s_cbranch_vccnz .LBB9_57
; %bb.55:                               ;   in Loop: Header=BB9_43 Depth=2
	v_mov_b64_e32 v[14:15], 0
	v_mov_b32_e32 v26, v17
	v_mov_b32_e32 v27, v9
	s_mov_b32 s45, s15
.LBB9_56:                               ;   Parent Loop BB9_12 Depth=1
                                        ;     Parent Loop BB9_43 Depth=2
                                        ; =>    This Inner Loop Header: Depth=3
	ds_read_b64 v[28:29], v26
	ds_read_b64 v[30:31], v27
	s_add_i32 s45, s45, -1
	v_add_u32_e32 v27, 8, v27
	v_add_u32_e32 v26, 0x48, v26
	s_cmp_eq_u32 s45, 0
	s_waitcnt lgkmcnt(0)
	v_fmac_f64_e32 v[14:15], v[28:29], v[30:31]
	s_cbranch_scc0 .LBB9_56
.LBB9_57:                               ;   in Loop: Header=BB9_43 Depth=2
	s_and_saveexec_b64 s[50:51], s[12:13]
	s_cbranch_execz .LBB9_41
; %bb.58:                               ;   in Loop: Header=BB9_43 Depth=2
	v_mad_u64_u32 v[26:27], s[52:53], v11, s15, v[6:7]
	v_mad_u64_u32 v[26:27], s[52:53], v26, s15, v[8:9]
	v_mov_b32_e32 v27, v24
	v_lshl_add_u64 v[26:27], v[26:27], 3, s[20:21]
	global_load_dwordx2 v[28:29], v[26:27], off
	s_waitcnt vmcnt(0)
	v_add_f64 v[14:15], v[28:29], -v[14:15]
	global_store_dwordx2 v[26:27], v[14:15], off
	s_branch .LBB9_41
.LBB9_59:
	s_ashr_i32 s39, s38, 31
	s_lshl_b64 s[0:1], s[38:39], 2
	s_add_u32 s0, s18, s0
	s_addc_u32 s1, s19, s1
	v_mov_b32_e32 v6, 0
	global_load_dword v6, v6, s[0:1]
	s_waitcnt vmcnt(0)
	v_subrev_u32_e32 v6, s14, v6
	v_cmp_ne_u32_e32 vcc, s30, v6
	s_cbranch_vccnz .LBB9_85
; %bb.60:
	v_and_b32_e32 v10, 0x3ff, v0
	v_max_u32_e32 v6, v10, v1
	v_cmp_gt_u32_e64 s[0:1], s15, v6
	v_mov_b64_e32 v[8:9], 0
	s_and_saveexec_b64 s[2:3], s[0:1]
	s_cbranch_execz .LBB9_62
; %bb.61:
	s_cmp_eq_u32 s40, 0
	s_cselect_b64 vcc, -1, 0
	s_mul_i32 s4, s38, s15
	v_cndmask_b32_e32 v8, v1, v10, vcc
	v_cndmask_b32_e32 v6, v10, v1, vcc
	v_add_u32_e32 v8, s4, v8
	v_mad_u64_u32 v[8:9], s[4:5], v8, s15, v[6:7]
	v_mov_b32_e32 v9, 0
	v_lshl_add_u64 v[8:9], v[8:9], 3, s[20:21]
	global_load_dwordx2 v[8:9], v[8:9], off
.LBB9_62:
	s_or_b64 exec, exec, s[2:3]
	v_lshlrev_b32_e32 v6, 3, v10
	s_movk_i32 s6, 0x48
	v_mad_u32_u24 v11, v1, s6, v6
	s_cmp_lt_i32 s15, 1
	s_waitcnt vmcnt(0)
	ds_write_b64 v11, v[8:9]
	s_waitcnt lgkmcnt(0)
	s_cbranch_scc1 .LBB9_82
; %bb.63:
	v_cvt_f64_f32_e32 v[8:9], v7
	v_or_b32_e32 v7, v10, v1
	s_cmp_eq_u64 s[24:25], 8
	v_cmp_eq_u32_e64 s[2:3], 0, v7
	v_mul_u32_u24_e32 v7, 0x48, v1
	s_movk_i32 s7, 0x50
	s_cselect_b64 vcc, -1, 0
	v_add3_u32 v12, v7, v6, s7
	v_add_u32_e32 v15, 8, v6
	v_cndmask_b32_e64 v6, 0, 1, s[42:43]
	v_cndmask_b32_e32 v5, v9, v5, vcc
	v_cndmask_b32_e32 v4, v8, v4, vcc
	s_mov_b32 s12, 0
	v_cmp_eq_u32_e64 s[4:5], 0, v1
	v_mad_u32_u24 v13, v1, s6, s6
	v_add_u32_e32 v14, 1, v10
	v_cmp_ne_u32_e64 s[6:7], 1, v6
	v_mov_b32_e32 v17, v16
	s_mov_b32 s13, s15
	s_mov_b32 s16, 0
.LBB9_64:                               ; =>This Inner Loop Header: Depth=1
	v_mov_b32_e32 v6, s12
	s_waitcnt lgkmcnt(0)
	ds_read_b64 v[8:9], v6
	s_mov_b64 s[10:11], -1
	s_and_b64 vcc, exec, s[6:7]
	s_mov_b64 s[8:9], 0
                                        ; implicit-def: $vgpr6_vgpr7
	s_cbranch_vccz .LBB9_71
; %bb.65:                               ;   in Loop: Header=BB9_64 Depth=1
	s_andn2_b64 vcc, exec, s[10:11]
	s_mov_b64 s[10:11], 0
	s_cbranch_vccz .LBB9_74
.LBB9_66:                               ;   in Loop: Header=BB9_64 Depth=1
	s_andn2_b64 vcc, exec, s[8:9]
                                        ; implicit-def: $sgpr8
	s_cbranch_vccz .LBB9_75
.LBB9_67:                               ;   in Loop: Header=BB9_64 Depth=1
	s_andn2_b64 vcc, exec, s[10:11]
	s_cbranch_vccnz .LBB9_69
.LBB9_68:                               ;   in Loop: Header=BB9_64 Depth=1
	s_add_i32 s8, s16, 1
	s_mov_b64 s[36:37], -1
.LBB9_69:                               ;   in Loop: Header=BB9_64 Depth=1
	s_add_i32 s13, s13, -1
	s_addk_i32 s12, 0x50
	v_add_u32_e32 v12, 0x50, v12
	v_add_u32_e32 v13, 0x50, v13
	;; [unrolled: 1-line block ×4, first 2 shown]
	s_cmp_eq_u32 s13, 0
	v_add_u32_e32 v15, 0x50, v15
	s_cbranch_scc1 .LBB9_82
; %bb.70:                               ;   in Loop: Header=BB9_64 Depth=1
	s_mov_b32 s16, s8
	s_branch .LBB9_64
.LBB9_71:                               ;   in Loop: Header=BB9_64 Depth=1
	s_waitcnt lgkmcnt(0)
	v_cmp_ge_f64_e64 vcc, v[4:5], |v[8:9]|
	s_nop 1
	v_cndmask_b32_e32 v7, v9, v3, vcc
	v_cndmask_b32_e32 v6, v8, v2, vcc
	s_and_saveexec_b64 s[8:9], s[2:3]
; %bb.72:                               ;   in Loop: Header=BB9_64 Depth=1
	v_mov_b32_e32 v18, s12
	ds_write_b64 v18, v[6:7]
; %bb.73:                               ;   in Loop: Header=BB9_64 Depth=1
	s_or_b64 exec, exec, s[8:9]
	s_mov_b64 s[8:9], -1
	s_mov_b64 s[10:11], 0
	s_cbranch_execnz .LBB9_66
.LBB9_74:                               ;   in Loop: Header=BB9_64 Depth=1
	s_waitcnt lgkmcnt(0)
	v_cmp_neq_f64_e64 s[8:9], 0, v[8:9]
	s_mov_b64 s[10:11], -1
	v_mov_b64_e32 v[6:7], v[8:9]
	s_andn2_b64 vcc, exec, s[8:9]
                                        ; implicit-def: $sgpr8
	s_cbranch_vccnz .LBB9_67
.LBB9_75:                               ;   in Loop: Header=BB9_64 Depth=1
	v_cmp_gt_i32_e32 vcc, s15, v14
	s_and_saveexec_b64 s[8:9], vcc
	s_cbranch_execz .LBB9_80
; %bb.76:                               ;   in Loop: Header=BB9_64 Depth=1
	s_waitcnt lgkmcnt(0)
	ds_read_b64 v[8:9], v15
	s_waitcnt lgkmcnt(0)
	v_div_scale_f64 v[18:19], s[10:11], v[6:7], v[6:7], v[8:9]
	v_rcp_f64_e32 v[20:21], v[18:19]
	v_div_scale_f64 v[22:23], vcc, v[8:9], v[6:7], v[8:9]
	v_fma_f64 v[24:25], -v[18:19], v[20:21], 1.0
	v_fmac_f64_e32 v[20:21], v[20:21], v[24:25]
	v_fma_f64 v[24:25], -v[18:19], v[20:21], 1.0
	v_fmac_f64_e32 v[20:21], v[20:21], v[24:25]
	v_mul_f64 v[24:25], v[22:23], v[20:21]
	v_fma_f64 v[18:19], -v[18:19], v[24:25], v[22:23]
	v_div_fmas_f64 v[18:19], v[18:19], v[20:21], v[24:25]
	v_div_fixup_f64 v[6:7], v[18:19], v[6:7], v[8:9]
	s_and_saveexec_b64 s[10:11], s[4:5]
; %bb.77:                               ;   in Loop: Header=BB9_64 Depth=1
	ds_write_b64 v15, v[6:7]
; %bb.78:                               ;   in Loop: Header=BB9_64 Depth=1
	s_or_b64 exec, exec, s[10:11]
	v_cmp_gt_i32_e32 vcc, s15, v17
	s_and_b64 exec, exec, vcc
	s_cbranch_execz .LBB9_80
; %bb.79:                               ;   in Loop: Header=BB9_64 Depth=1
	ds_read_b64 v[8:9], v13
	ds_read_b64 v[18:19], v12
	s_waitcnt lgkmcnt(0)
	v_fma_f64 v[6:7], -v[6:7], v[8:9], v[18:19]
	ds_write_b64 v12, v[6:7]
.LBB9_80:                               ;   in Loop: Header=BB9_64 Depth=1
	s_or_b64 exec, exec, s[8:9]
	s_add_i32 s8, s16, 1
	s_cbranch_execz .LBB9_68
	s_branch .LBB9_69
.LBB9_81:
	s_mov_b64 s[36:37], -1
	s_branch .LBB9_109
.LBB9_82:
	s_waitcnt lgkmcnt(0)
	s_and_saveexec_b64 s[2:3], s[0:1]
	s_cbranch_execz .LBB9_84
; %bb.83:
	s_cmp_eq_u32 s40, 0
	s_cselect_b64 vcc, -1, 0
	ds_read_b64 v[2:3], v11
	s_mul_i32 s0, s38, s15
	v_cndmask_b32_e32 v5, v1, v10, vcc
	v_cndmask_b32_e32 v4, v10, v1, vcc
	v_add_u32_e32 v5, s0, v5
	v_mad_u64_u32 v[4:5], s[0:1], v5, s15, v[4:5]
	v_mov_b32_e32 v5, 0
	v_lshl_add_u64 v[4:5], v[4:5], 3, s[20:21]
	s_waitcnt lgkmcnt(0)
	global_store_dwordx2 v[4:5], v[2:3], off
.LBB9_84:
	s_or_b64 exec, exec, s[2:3]
.LBB9_85:
	s_add_i32 s10, s38, 1
	s_cmp_ge_i32 s10, s31
	s_cbranch_scc1 .LBB9_109
; %bb.86:
	s_cmp_eq_u32 s40, 0
	s_cselect_b64 vcc, -1, 0
	s_cmp_gt_i32 s15, 0
	v_and_b32_e32 v6, 0x3ff, v0
	s_cselect_b64 s[2:3], -1, 0
	s_add_i32 s4, s15, -1
	s_and_b32 s11, s15, 3
	v_mul_u32_u24_e32 v2, 0x48, v1
	v_lshlrev_b32_e32 v3, 3, v6
	s_movk_i32 s0, 0x240
	s_cmp_gt_u32 s4, 2
	s_movk_i32 s6, 0x48
	v_add3_u32 v3, v2, v3, s0
	v_max_u32_e32 v2, v6, v1
	s_cselect_b64 s[4:5], -1, 0
	s_and_b32 s12, s15, 0x7ffffffc
	v_mov_b32_e32 v7, 0x240
	v_cmp_gt_u32_e64 s[0:1], s15, v2
	v_cndmask_b32_e32 v4, v1, v6, vcc
	v_cndmask_b32_e32 v2, v6, v1, vcc
	s_cmp_lg_u32 s11, 0
	v_lshlrev_b32_e32 v5, 3, v1
	v_mul_u32_u24_e32 v8, 0x48, v6
	v_mad_u32_u24 v6, v6, s6, v7
	s_movk_i32 s6, 0x248
	v_cndmask_b32_e64 v10, 0, 1, s[2:3]
	v_add3_u32 v8, v8, v5, s6
	v_cmp_ne_u32_e64 s[2:3], 1, v10
	v_cndmask_b32_e64 v10, 0, 1, s[4:5]
	s_cselect_b64 s[6:7], -1, 0
	v_cmp_ne_u32_e64 s[4:5], 1, v10
	v_cndmask_b32_e64 v10, 0, 1, s[6:7]
	v_add_u32_e32 v7, 8, v5
	v_mov_b32_e32 v9, 0
	v_cmp_ne_u32_e64 s[6:7], 1, v10
	s_branch .LBB9_88
.LBB9_87:                               ;   in Loop: Header=BB9_88 Depth=1
	s_or_b64 exec, exec, s[8:9]
	s_add_i32 s10, s10, 1
	s_cmp_lt_i32 s10, s31
	s_cbranch_scc0 .LBB9_109
.LBB9_88:                               ; =>This Loop Header: Depth=1
                                        ;     Child Loop BB9_94 Depth 2
                                        ;     Child Loop BB9_105 Depth 2
	s_mul_i32 s8, s10, s15
	v_mov_b64_e32 v[12:13], 0
	v_add_u32_e32 v10, s8, v4
	s_waitcnt lgkmcnt(0)
	s_and_saveexec_b64 s[8:9], s[0:1]
	s_cbranch_execz .LBB9_90
; %bb.89:                               ;   in Loop: Header=BB9_88 Depth=1
	v_mad_u64_u32 v[12:13], s[16:17], v10, s15, v[2:3]
	v_mov_b32_e32 v13, v9
	v_lshl_add_u64 v[12:13], v[12:13], 3, s[20:21]
	global_load_dwordx2 v[12:13], v[12:13], off
.LBB9_90:                               ;   in Loop: Header=BB9_88 Depth=1
	s_or_b64 exec, exec, s[8:9]
	s_and_b64 vcc, exec, s[2:3]
	s_waitcnt vmcnt(0)
	ds_write_b64 v3, v[12:13]
	s_waitcnt lgkmcnt(0)
	s_cbranch_vccnz .LBB9_107
; %bb.91:                               ;   in Loop: Header=BB9_88 Depth=1
	s_and_b64 vcc, exec, s[4:5]
	s_mov_b32 s8, 0
	s_cbranch_vccnz .LBB9_102
; %bb.92:                               ;   in Loop: Header=BB9_88 Depth=1
	s_mov_b32 s13, 0
	s_mov_b32 s16, 8
	v_mov_b32_e32 v11, v6
	s_branch .LBB9_94
.LBB9_93:                               ;   in Loop: Header=BB9_94 Depth=2
	s_or_b64 exec, exec, s[8:9]
	s_add_i32 s13, s13, 4
	s_addk_i32 s16, 0x140
	v_add_u32_e32 v11, 32, v11
	s_cmp_eq_u32 s12, s13
	s_mov_b32 s8, s12
	s_cbranch_scc1 .LBB9_102
.LBB9_94:                               ;   Parent Loop BB9_88 Depth=1
                                        ; =>  This Inner Loop Header: Depth=2
	v_add_u32_e32 v14, s13, v1
	v_add_u32_e32 v12, 1, v14
	v_cmp_gt_i32_e32 vcc, s15, v12
	v_add_u32_e32 v13, s16, v5
	v_add_u32_e32 v12, v11, v5
	s_and_saveexec_b64 s[8:9], vcc
	s_cbranch_execz .LBB9_96
; %bb.95:                               ;   in Loop: Header=BB9_94 Depth=2
	ds_read_b64 v[18:19], v13
	ds_read_b64 v[20:21], v11
	ds_read_b64 v[22:23], v12 offset:8
	s_waitcnt lgkmcnt(0)
	v_fma_f64 v[18:19], -v[18:19], v[20:21], v[22:23]
	ds_write_b64 v12, v[18:19] offset:8
.LBB9_96:                               ;   in Loop: Header=BB9_94 Depth=2
	s_or_b64 exec, exec, s[8:9]
	v_add_u32_e32 v15, 2, v14
	v_cmp_gt_i32_e32 vcc, s15, v15
	s_and_saveexec_b64 s[8:9], vcc
	s_cbranch_execz .LBB9_98
; %bb.97:                               ;   in Loop: Header=BB9_94 Depth=2
	ds_read_b64 v[18:19], v13 offset:80
	ds_read_b64 v[20:21], v11 offset:8
	;; [unrolled: 1-line block ×3, first 2 shown]
	s_waitcnt lgkmcnt(0)
	v_fma_f64 v[18:19], -v[18:19], v[20:21], v[22:23]
	ds_write_b64 v12, v[18:19] offset:16
.LBB9_98:                               ;   in Loop: Header=BB9_94 Depth=2
	s_or_b64 exec, exec, s[8:9]
	v_add_u32_e32 v15, 3, v14
	v_cmp_gt_i32_e32 vcc, s15, v15
	s_and_saveexec_b64 s[8:9], vcc
	s_cbranch_execz .LBB9_100
; %bb.99:                               ;   in Loop: Header=BB9_94 Depth=2
	ds_read_b64 v[18:19], v13 offset:160
	ds_read_b64 v[20:21], v11 offset:16
	;; [unrolled: 1-line block ×3, first 2 shown]
	s_waitcnt lgkmcnt(0)
	v_fma_f64 v[18:19], -v[18:19], v[20:21], v[22:23]
	ds_write_b64 v12, v[18:19] offset:24
.LBB9_100:                              ;   in Loop: Header=BB9_94 Depth=2
	s_or_b64 exec, exec, s[8:9]
	v_add_u32_e32 v14, 4, v14
	v_cmp_gt_i32_e32 vcc, s15, v14
	s_and_saveexec_b64 s[8:9], vcc
	s_cbranch_execz .LBB9_93
; %bb.101:                              ;   in Loop: Header=BB9_94 Depth=2
	ds_read_b64 v[14:15], v13 offset:240
	ds_read_b64 v[18:19], v11 offset:24
	;; [unrolled: 1-line block ×3, first 2 shown]
	s_waitcnt lgkmcnt(0)
	v_fma_f64 v[14:15], -v[14:15], v[18:19], v[20:21]
	ds_write_b64 v12, v[14:15] offset:32
	s_branch .LBB9_93
.LBB9_102:                              ;   in Loop: Header=BB9_88 Depth=1
	s_and_b64 vcc, exec, s[6:7]
	s_cbranch_vccnz .LBB9_107
; %bb.103:                              ;   in Loop: Header=BB9_88 Depth=1
	s_mul_i32 s9, s8, 0x50
	v_add_u32_e32 v11, s9, v7
	s_lshl_b32 s9, s8, 3
	v_add_u32_e32 v12, s9, v8
	v_add_u32_e32 v13, s9, v6
	;; [unrolled: 1-line block ×3, first 2 shown]
	s_mov_b32 s13, s11
	s_branch .LBB9_105
.LBB9_104:                              ;   in Loop: Header=BB9_105 Depth=2
	s_or_b64 exec, exec, s[8:9]
	s_add_i32 s13, s13, -1
	v_add_u32_e32 v11, 0x50, v11
	v_add_u32_e32 v12, 8, v12
	;; [unrolled: 1-line block ×3, first 2 shown]
	s_cmp_lg_u32 s13, 0
	v_add_u32_e32 v14, 1, v14
	s_cbranch_scc0 .LBB9_107
.LBB9_105:                              ;   Parent Loop BB9_88 Depth=1
                                        ; =>  This Inner Loop Header: Depth=2
	v_cmp_gt_i32_e32 vcc, s15, v14
	s_and_saveexec_b64 s[8:9], vcc
	s_cbranch_execz .LBB9_104
; %bb.106:                              ;   in Loop: Header=BB9_105 Depth=2
	ds_read_b64 v[18:19], v11
	ds_read_b64 v[20:21], v13
	;; [unrolled: 1-line block ×3, first 2 shown]
	s_waitcnt lgkmcnt(0)
	v_fma_f64 v[18:19], -v[18:19], v[20:21], v[22:23]
	ds_write_b64 v12, v[18:19]
	s_branch .LBB9_104
.LBB9_107:                              ;   in Loop: Header=BB9_88 Depth=1
	s_waitcnt lgkmcnt(0)
	s_and_saveexec_b64 s[8:9], s[0:1]
	s_cbranch_execz .LBB9_87
; %bb.108:                              ;   in Loop: Header=BB9_88 Depth=1
	ds_read_b64 v[12:13], v3
	v_mad_u64_u32 v[10:11], s[16:17], v10, s15, v[2:3]
	v_mov_b32_e32 v11, v9
	v_lshl_add_u64 v[10:11], v[10:11], 3, s[20:21]
	s_waitcnt lgkmcnt(0)
	global_store_dwordx2 v[10:11], v[12:13], off
	s_branch .LBB9_87
.LBB9_109:
	v_and_b32_e32 v0, 0xfffff, v0
	v_cmp_eq_u32_e32 vcc, 0, v0
	s_and_saveexec_b64 s[0:1], vcc
	s_cbranch_execz .LBB9_113
; %bb.110:
	s_add_u32 s0, s28, s34
	s_addc_u32 s1, s29, s35
	v_mov_b32_e32 v0, 0
	v_mov_b32_e32 v1, 1
	s_andn2_b64 vcc, exec, s[36:37]
	buffer_wbl2 sc1
	s_waitcnt vmcnt(0) lgkmcnt(0)
	global_store_dword v0, v1, s[0:1] sc1
	s_cbranch_vccnz .LBB9_113
; %bb.111:
	v_mbcnt_lo_u32_b32 v0, exec_lo, 0
	v_mbcnt_hi_u32_b32 v0, exec_hi, v0
	v_cmp_eq_u32_e32 vcc, 0, v0
	s_and_b64 exec, exec, vcc
	s_cbranch_execz .LBB9_113
; %bb.112:
	s_add_i32 s0, s30, s14
	v_mov_b32_e32 v0, 0
	v_mov_b32_e32 v1, s0
	global_atomic_smin v0, v1, s[26:27]
.LBB9_113:
	s_endpgm
	.section	.rodata,"a",@progbits
	.p2align	6, 0x0
	.amdhsa_kernel _ZN9rocsparseL11bsrilu0_2_8ILj64ELj64ELj8EdEEv20rocsparse_direction_iPKiS3_PT2_S3_iPiS3_S6_21rocsparse_index_base_imNS_24const_host_device_scalarIfEENS8_IdEENS8_IS4_EEb
		.amdhsa_group_segment_fixed_size 1152
		.amdhsa_private_segment_fixed_size 0
		.amdhsa_kernarg_size 376
		.amdhsa_user_sgpr_count 2
		.amdhsa_user_sgpr_dispatch_ptr 0
		.amdhsa_user_sgpr_queue_ptr 0
		.amdhsa_user_sgpr_kernarg_segment_ptr 1
		.amdhsa_user_sgpr_dispatch_id 0
		.amdhsa_user_sgpr_kernarg_preload_length 0
		.amdhsa_user_sgpr_kernarg_preload_offset 0
		.amdhsa_user_sgpr_private_segment_size 0
		.amdhsa_uses_dynamic_stack 0
		.amdhsa_enable_private_segment 0
		.amdhsa_system_sgpr_workgroup_id_x 1
		.amdhsa_system_sgpr_workgroup_id_y 0
		.amdhsa_system_sgpr_workgroup_id_z 0
		.amdhsa_system_sgpr_workgroup_info 0
		.amdhsa_system_vgpr_workitem_id 1
		.amdhsa_next_free_vgpr 36
		.amdhsa_next_free_sgpr 57
		.amdhsa_accum_offset 36
		.amdhsa_reserve_vcc 1
		.amdhsa_float_round_mode_32 0
		.amdhsa_float_round_mode_16_64 0
		.amdhsa_float_denorm_mode_32 3
		.amdhsa_float_denorm_mode_16_64 3
		.amdhsa_dx10_clamp 1
		.amdhsa_ieee_mode 1
		.amdhsa_fp16_overflow 0
		.amdhsa_tg_split 0
		.amdhsa_exception_fp_ieee_invalid_op 0
		.amdhsa_exception_fp_denorm_src 0
		.amdhsa_exception_fp_ieee_div_zero 0
		.amdhsa_exception_fp_ieee_overflow 0
		.amdhsa_exception_fp_ieee_underflow 0
		.amdhsa_exception_fp_ieee_inexact 0
		.amdhsa_exception_int_div_zero 0
	.end_amdhsa_kernel
	.section	.text._ZN9rocsparseL11bsrilu0_2_8ILj64ELj64ELj8EdEEv20rocsparse_direction_iPKiS3_PT2_S3_iPiS3_S6_21rocsparse_index_base_imNS_24const_host_device_scalarIfEENS8_IdEENS8_IS4_EEb,"axG",@progbits,_ZN9rocsparseL11bsrilu0_2_8ILj64ELj64ELj8EdEEv20rocsparse_direction_iPKiS3_PT2_S3_iPiS3_S6_21rocsparse_index_base_imNS_24const_host_device_scalarIfEENS8_IdEENS8_IS4_EEb,comdat
.Lfunc_end9:
	.size	_ZN9rocsparseL11bsrilu0_2_8ILj64ELj64ELj8EdEEv20rocsparse_direction_iPKiS3_PT2_S3_iPiS3_S6_21rocsparse_index_base_imNS_24const_host_device_scalarIfEENS8_IdEENS8_IS4_EEb, .Lfunc_end9-_ZN9rocsparseL11bsrilu0_2_8ILj64ELj64ELj8EdEEv20rocsparse_direction_iPKiS3_PT2_S3_iPiS3_S6_21rocsparse_index_base_imNS_24const_host_device_scalarIfEENS8_IdEENS8_IS4_EEb
                                        ; -- End function
	.set _ZN9rocsparseL11bsrilu0_2_8ILj64ELj64ELj8EdEEv20rocsparse_direction_iPKiS3_PT2_S3_iPiS3_S6_21rocsparse_index_base_imNS_24const_host_device_scalarIfEENS8_IdEENS8_IS4_EEb.num_vgpr, 36
	.set _ZN9rocsparseL11bsrilu0_2_8ILj64ELj64ELj8EdEEv20rocsparse_direction_iPKiS3_PT2_S3_iPiS3_S6_21rocsparse_index_base_imNS_24const_host_device_scalarIfEENS8_IdEENS8_IS4_EEb.num_agpr, 0
	.set _ZN9rocsparseL11bsrilu0_2_8ILj64ELj64ELj8EdEEv20rocsparse_direction_iPKiS3_PT2_S3_iPiS3_S6_21rocsparse_index_base_imNS_24const_host_device_scalarIfEENS8_IdEENS8_IS4_EEb.numbered_sgpr, 57
	.set _ZN9rocsparseL11bsrilu0_2_8ILj64ELj64ELj8EdEEv20rocsparse_direction_iPKiS3_PT2_S3_iPiS3_S6_21rocsparse_index_base_imNS_24const_host_device_scalarIfEENS8_IdEENS8_IS4_EEb.num_named_barrier, 0
	.set _ZN9rocsparseL11bsrilu0_2_8ILj64ELj64ELj8EdEEv20rocsparse_direction_iPKiS3_PT2_S3_iPiS3_S6_21rocsparse_index_base_imNS_24const_host_device_scalarIfEENS8_IdEENS8_IS4_EEb.private_seg_size, 0
	.set _ZN9rocsparseL11bsrilu0_2_8ILj64ELj64ELj8EdEEv20rocsparse_direction_iPKiS3_PT2_S3_iPiS3_S6_21rocsparse_index_base_imNS_24const_host_device_scalarIfEENS8_IdEENS8_IS4_EEb.uses_vcc, 1
	.set _ZN9rocsparseL11bsrilu0_2_8ILj64ELj64ELj8EdEEv20rocsparse_direction_iPKiS3_PT2_S3_iPiS3_S6_21rocsparse_index_base_imNS_24const_host_device_scalarIfEENS8_IdEENS8_IS4_EEb.uses_flat_scratch, 0
	.set _ZN9rocsparseL11bsrilu0_2_8ILj64ELj64ELj8EdEEv20rocsparse_direction_iPKiS3_PT2_S3_iPiS3_S6_21rocsparse_index_base_imNS_24const_host_device_scalarIfEENS8_IdEENS8_IS4_EEb.has_dyn_sized_stack, 0
	.set _ZN9rocsparseL11bsrilu0_2_8ILj64ELj64ELj8EdEEv20rocsparse_direction_iPKiS3_PT2_S3_iPiS3_S6_21rocsparse_index_base_imNS_24const_host_device_scalarIfEENS8_IdEENS8_IS4_EEb.has_recursion, 0
	.set _ZN9rocsparseL11bsrilu0_2_8ILj64ELj64ELj8EdEEv20rocsparse_direction_iPKiS3_PT2_S3_iPiS3_S6_21rocsparse_index_base_imNS_24const_host_device_scalarIfEENS8_IdEENS8_IS4_EEb.has_indirect_call, 0
	.section	.AMDGPU.csdata,"",@progbits
; Kernel info:
; codeLenInByte = 3816
; TotalNumSgprs: 63
; NumVgprs: 36
; NumAgprs: 0
; TotalNumVgprs: 36
; ScratchSize: 0
; MemoryBound: 0
; FloatMode: 240
; IeeeMode: 1
; LDSByteSize: 1152 bytes/workgroup (compile time only)
; SGPRBlocks: 7
; VGPRBlocks: 4
; NumSGPRsForWavesPerEU: 63
; NumVGPRsForWavesPerEU: 36
; AccumOffset: 36
; Occupancy: 8
; WaveLimiterHint : 1
; COMPUTE_PGM_RSRC2:SCRATCH_EN: 0
; COMPUTE_PGM_RSRC2:USER_SGPR: 2
; COMPUTE_PGM_RSRC2:TRAP_HANDLER: 0
; COMPUTE_PGM_RSRC2:TGID_X_EN: 1
; COMPUTE_PGM_RSRC2:TGID_Y_EN: 0
; COMPUTE_PGM_RSRC2:TGID_Z_EN: 0
; COMPUTE_PGM_RSRC2:TIDIG_COMP_CNT: 1
; COMPUTE_PGM_RSRC3_GFX90A:ACCUM_OFFSET: 8
; COMPUTE_PGM_RSRC3_GFX90A:TG_SPLIT: 0
	.section	.text._ZN9rocsparseL12bsrilu0_9_32ILj64ELj64ELj16EdEEv20rocsparse_direction_iPKiS3_PT2_S3_iPiS3_S6_21rocsparse_index_base_imNS_24const_host_device_scalarIfEENS8_IdEENS8_IS4_EEb,"axG",@progbits,_ZN9rocsparseL12bsrilu0_9_32ILj64ELj64ELj16EdEEv20rocsparse_direction_iPKiS3_PT2_S3_iPiS3_S6_21rocsparse_index_base_imNS_24const_host_device_scalarIfEENS8_IdEENS8_IS4_EEb,comdat
	.globl	_ZN9rocsparseL12bsrilu0_9_32ILj64ELj64ELj16EdEEv20rocsparse_direction_iPKiS3_PT2_S3_iPiS3_S6_21rocsparse_index_base_imNS_24const_host_device_scalarIfEENS8_IdEENS8_IS4_EEb ; -- Begin function _ZN9rocsparseL12bsrilu0_9_32ILj64ELj64ELj16EdEEv20rocsparse_direction_iPKiS3_PT2_S3_iPiS3_S6_21rocsparse_index_base_imNS_24const_host_device_scalarIfEENS8_IdEENS8_IS4_EEb
	.p2align	8
	.type	_ZN9rocsparseL12bsrilu0_9_32ILj64ELj64ELj16EdEEv20rocsparse_direction_iPKiS3_PT2_S3_iPiS3_S6_21rocsparse_index_base_imNS_24const_host_device_scalarIfEENS8_IdEENS8_IS4_EEb,@function
_ZN9rocsparseL12bsrilu0_9_32ILj64ELj64ELj16EdEEv20rocsparse_direction_iPKiS3_PT2_S3_iPiS3_S6_21rocsparse_index_base_imNS_24const_host_device_scalarIfEENS8_IdEENS8_IS4_EEb: ; @_ZN9rocsparseL12bsrilu0_9_32ILj64ELj64ELj16EdEEv20rocsparse_direction_iPKiS3_PT2_S3_iPiS3_S6_21rocsparse_index_base_imNS_24const_host_device_scalarIfEENS8_IdEENS8_IS4_EEb
; %bb.0:
	s_load_dword s3, s[0:1], 0x70
	s_load_dwordx2 s[14:15], s[0:1], 0x48
	s_load_dwordx8 s[24:31], s[0:1], 0x50
	s_waitcnt lgkmcnt(0)
	s_bitcmp1_b32 s3, 0
	s_cselect_b64 s[4:5], -1, 0
	s_cmp_eq_u32 s15, 0
	s_cselect_b64 s[6:7], -1, 0
	s_cmp_lg_u32 s15, 0
	s_cselect_b64 s[42:43], -1, 0
	s_or_b64 s[4:5], s[6:7], s[4:5]
	s_xor_b64 s[8:9], s[4:5], -1
	s_and_b64 s[10:11], s[6:7], exec
	s_cselect_b32 s11, 0, s29
	s_cselect_b32 s10, 0, s28
	s_and_b64 vcc, exec, s[4:5]
	s_cbranch_vccnz .LBB10_2
; %bb.1:
	s_load_dword s3, s[26:27], 0x0
	s_mov_b64 s[10:11], s[28:29]
	s_waitcnt lgkmcnt(0)
	v_mov_b32_e32 v1, s3
	s_branch .LBB10_3
.LBB10_2:
	v_mov_b32_e32 v1, s26
	v_cndmask_b32_e64 v1, v1, 0, s[6:7]
.LBB10_3:
	v_cndmask_b32_e64 v2, 0, 1, s[8:9]
	v_cmp_ne_u32_e64 s[4:5], 1, v2
	s_andn2_b64 vcc, exec, s[8:9]
	v_mov_b64_e32 v[4:5], s[10:11]
	s_cbranch_vccnz .LBB10_5
; %bb.4:
	v_mov_b64_e32 v[2:3], s[28:29]
	flat_load_dwordx2 v[4:5], v[2:3]
.LBB10_5:
	s_and_b64 s[6:7], s[6:7], exec
	s_cselect_b32 s7, 0, s31
	s_cselect_b32 s6, 0, s30
	s_mov_b32 s3, 0
	s_and_b64 vcc, exec, s[4:5]
	v_mov_b64_e32 v[2:3], s[6:7]
	s_cbranch_vccnz .LBB10_7
; %bb.6:
	v_mov_b64_e32 v[2:3], s[30:31]
	flat_load_dwordx2 v[2:3], v[2:3]
.LBB10_7:
	s_load_dwordx4 s[28:31], s[0:1], 0x30
	s_load_dwordx2 s[26:27], s[0:1], 0x40
	s_lshl_b64 s[2:3], s[2:3], 2
	s_waitcnt lgkmcnt(0)
	s_add_u32 s2, s30, s2
	s_addc_u32 s3, s31, s3
	s_load_dword s30, s[2:3], 0x0
	s_load_dwordx8 s[16:23], s[0:1], 0x8
	s_waitcnt lgkmcnt(0)
	s_ashr_i32 s31, s30, 31
	s_lshl_b64 s[34:35], s[30:31], 2
	s_add_u32 s2, s22, s34
	s_addc_u32 s3, s23, s35
	s_load_dword s38, s[2:3], 0x0
	s_waitcnt lgkmcnt(0)
	s_cmp_eq_u32 s38, -1
	s_cbranch_scc1 .LBB10_125
; %bb.8:
	s_add_u32 s2, s16, s34
	s_addc_u32 s3, s17, s35
	s_load_dwordx2 s[4:5], s[2:3], 0x0
	s_load_dwordx2 s[40:41], s[0:1], 0x0
	s_load_dword s15, s[0:1], 0x28
	s_mov_b64 s[36:37], 0
	s_waitcnt lgkmcnt(0)
	s_sub_i32 s44, s4, s14
	s_sub_i32 s31, s5, s14
	s_cmp_ge_i32 s44, s38
	s_cbranch_scc1 .LBB10_114
; %bb.9:
	s_cmp_lg_u32 s40, 0
	v_bfe_u32 v18, v0, 10, 10
	s_cselect_b64 s[46:47], -1, 0
	s_cmp_gt_i32 s15, 0
	v_and_b32_e32 v11, 0x3ff, v0
	s_cselect_b64 s[48:49], -1, 0
	v_lshlrev_b32_e32 v6, 4, v18
	s_add_i32 s33, s41, 1
	v_add3_u32 v6, v6, v11, s44
	s_cmp_lg_u32 s15, 1
	v_ashrrev_i32_e32 v7, 31, v6
	s_cselect_b64 s[50:51], -1, 0
	s_and_b32 s39, s15, 0x7ffffffe
	s_mul_i32 s10, s15, s44
	s_movk_i32 s65, 0x88
	v_lshlrev_b32_e32 v12, 3, v11
	v_mov_b32_e32 v10, 0x118
	v_lshl_add_u64 v[8:9], v[6:7], 2, s[18:19]
	s_bitcmp1_b32 s15, 0
	v_add_u32_e32 v7, s10, v11
	v_mad_u32_u24 v21, v18, s65, v12
	v_mad_u32_u24 v25, v18, s65, v10
	v_add_u32_e32 v10, 0x908, v12
	v_add_u32_e32 v27, 0x880, v12
	v_mbcnt_lo_u32_b32 v12, -1, 0
	v_cmp_gt_i32_e64 s[0:1], s15, v11
	v_cmp_le_i32_e64 s[2:3], s15, v11
	v_cmp_gt_i32_e64 s[4:5], s15, v18
	v_cmp_eq_u32_e64 s[6:7], 0, v18
	v_add_u32_e32 v19, 1, v18
	v_cmp_gt_i32_e64 s[8:9], s31, v6
	s_cselect_b64 s[52:53], -1, 0
	v_mul_lo_u32 v7, s15, v7
	s_mul_i32 s41, s15, s15
	s_lshl_b32 s64, s15, 4
	v_mul_u32_u24_e32 v20, 0x88, v18
	v_add_u32_e32 v22, 0x880, v21
	v_add_u32_e32 v23, 0x908, v21
	v_mad_u32_u24 v24, v18, s65, s65
	v_add_u32_e32 v26, 0x990, v21
	v_mov_b32_e32 v28, 0
	v_mbcnt_hi_u32_b32 v29, -1, v12
	s_branch .LBB10_12
.LBB10_10:                              ;   in Loop: Header=BB10_12 Depth=1
	s_mov_b64 s[36:37], -1
.LBB10_11:                              ;   in Loop: Header=BB10_12 Depth=1
	s_add_i32 s44, s44, 1
	s_cmp_lt_i32 s44, s38
	s_cselect_b64 s[12:13], -1, 0
	s_and_b64 s[10:11], s[10:11], s[12:13]
	v_add_u32_e32 v7, s41, v7
	s_and_b64 vcc, exec, s[10:11]
	s_cbranch_vccz .LBB10_114
.LBB10_12:                              ; =>This Loop Header: Depth=1
                                        ;     Child Loop BB10_15 Depth 2
                                        ;       Child Loop BB10_18 Depth 3
                                        ;     Child Loop BB10_24 Depth 2
                                        ;     Child Loop BB10_28 Depth 2
                                        ;       Child Loop BB10_31 Depth 3
                                        ;     Child Loop BB10_40 Depth 2
                                        ;       Child Loop BB10_45 Depth 3
                                        ;         Child Loop BB10_49 Depth 4
                                        ;       Child Loop BB10_52 Depth 3
                                        ;         Child Loop BB10_56 Depth 4
                                        ;     Child Loop BB10_61 Depth 2
                                        ;       Child Loop BB10_65 Depth 3
                                        ;     Child Loop BB10_70 Depth 2
                                        ;       Child Loop BB10_73 Depth 3
	;; [unrolled: 2-line block ×3, first 2 shown]
                                        ;       Child Loop BB10_96 Depth 3
                                        ;         Child Loop BB10_99 Depth 4
                                        ;       Child Loop BB10_105 Depth 3
                                        ;         Child Loop BB10_108 Depth 4
                                        ;           Child Loop BB10_109 Depth 5
	s_ashr_i32 s45, s44, 31
	s_lshl_b64 s[10:11], s[44:45], 2
	s_add_u32 s10, s18, s10
	s_addc_u32 s11, s19, s11
	global_load_dword v12, v28, s[10:11]
	s_waitcnt vmcnt(0)
	v_readfirstlane_b32 s45, v12
	s_and_saveexec_b64 s[10:11], s[0:1]
	s_cbranch_execz .LBB10_22
; %bb.13:                               ;   in Loop: Header=BB10_12 Depth=1
	s_mul_i32 s60, s44, s15
	s_mov_b64 s[12:13], 0
	v_mov_b32_e32 v13, v22
	v_mov_b32_e32 v16, v7
	;; [unrolled: 1-line block ×3, first 2 shown]
	s_branch .LBB10_15
.LBB10_14:                              ;   in Loop: Header=BB10_15 Depth=2
	s_or_b64 exec, exec, s[54:55]
	v_add_u32_e32 v12, 16, v12
	v_cmp_le_i32_e32 vcc, s15, v12
	v_add_u32_e32 v16, s64, v16
	s_or_b64 s[12:13], vcc, s[12:13]
	v_add_u32_e32 v13, 0x80, v13
	s_andn2_b64 exec, exec, s[12:13]
	s_cbranch_execz .LBB10_22
.LBB10_15:                              ;   Parent Loop BB10_12 Depth=1
                                        ; =>  This Loop Header: Depth=2
                                        ;       Child Loop BB10_18 Depth 3
	s_and_saveexec_b64 s[54:55], s[4:5]
	s_cbranch_execz .LBB10_14
; %bb.16:                               ;   in Loop: Header=BB10_15 Depth=2
	s_mov_b64 s[56:57], 0
	v_mov_b32_e32 v17, v13
	v_mov_b32_e32 v30, v18
	s_branch .LBB10_18
.LBB10_17:                              ;   in Loop: Header=BB10_18 Depth=3
	v_ashrrev_i32_e32 v15, 31, v14
	v_lshl_add_u64 v[14:15], v[14:15], 3, s[20:21]
	global_load_dwordx2 v[14:15], v[14:15], off
	v_add_u32_e32 v30, 4, v30
	v_cmp_le_i32_e32 vcc, s15, v30
	s_or_b64 s[56:57], vcc, s[56:57]
	s_waitcnt vmcnt(0)
	ds_write_b64 v17, v[14:15]
	v_add_u32_e32 v17, 0x220, v17
	s_andn2_b64 exec, exec, s[56:57]
	s_cbranch_execz .LBB10_14
.LBB10_18:                              ;   Parent Loop BB10_12 Depth=1
                                        ;     Parent Loop BB10_15 Depth=2
                                        ; =>    This Inner Loop Header: Depth=3
	s_and_b64 vcc, exec, s[46:47]
	s_cbranch_vccz .LBB10_20
; %bb.19:                               ;   in Loop: Header=BB10_18 Depth=3
	v_add_u32_e32 v14, s60, v30
	v_mad_u64_u32 v[14:15], s[58:59], v14, s15, v[12:13]
	s_cbranch_execnz .LBB10_17
	s_branch .LBB10_21
.LBB10_20:                              ;   in Loop: Header=BB10_18 Depth=3
                                        ; implicit-def: $vgpr14
.LBB10_21:                              ;   in Loop: Header=BB10_18 Depth=3
	v_add_u32_e32 v14, v16, v30
	s_branch .LBB10_17
.LBB10_22:                              ;   in Loop: Header=BB10_12 Depth=1
	s_or_b64 exec, exec, s[10:11]
	s_sub_i32 s10, s45, s14
	s_ashr_i32 s11, s10, 31
	s_lshl_b64 s[12:13], s[10:11], 2
	s_add_u32 s10, s22, s12
	s_addc_u32 s11, s23, s13
	global_load_dword v12, v28, s[10:11]
	s_waitcnt vmcnt(0)
	v_cmp_eq_u32_e32 vcc, -1, v12
	v_readfirstlane_b32 s45, v12
	v_cmp_ne_u32_e64 s[10:11], -1, v12
	s_cbranch_vccnz .LBB10_10
; %bb.23:                               ;   in Loop: Header=BB10_12 Depth=1
	s_add_u32 s54, s16, s12
	s_addc_u32 s55, s17, s13
	global_load_dword v12, v28, s[54:55] offset:4
	s_add_u32 s12, s28, s12
	s_addc_u32 s13, s29, s13
	s_waitcnt vmcnt(0)
	v_readfirstlane_b32 s62, v12
.LBB10_24:                              ;   Parent Loop BB10_12 Depth=1
                                        ; =>  This Inner Loop Header: Depth=2
	global_load_dword v12, v28, s[12:13] sc1
	s_waitcnt vmcnt(0)
	v_cmp_eq_u32_e32 vcc, 0, v12
	s_cbranch_vccnz .LBB10_24
; %bb.25:                               ;   in Loop: Header=BB10_12 Depth=1
	s_waitcnt lgkmcnt(0)
	buffer_inv sc1
	s_and_saveexec_b64 s[12:13], s[0:1]
	s_cbranch_execz .LBB10_35
; %bb.26:                               ;   in Loop: Header=BB10_12 Depth=1
	s_mul_i32 s63, s45, s15
	v_add_u32_e32 v12, s63, v11
	v_mul_lo_u32 v13, s15, v12
	s_mov_b64 s[54:55], 0
	v_mov_b32_e32 v16, v21
	v_mov_b32_e32 v12, v11
	s_branch .LBB10_28
.LBB10_27:                              ;   in Loop: Header=BB10_28 Depth=2
	s_or_b64 exec, exec, s[56:57]
	v_add_u32_e32 v12, 16, v12
	v_cmp_le_i32_e32 vcc, s15, v12
	v_add_u32_e32 v13, s64, v13
	s_or_b64 s[54:55], vcc, s[54:55]
	v_add_u32_e32 v16, 0x80, v16
	s_andn2_b64 exec, exec, s[54:55]
	s_cbranch_execz .LBB10_35
.LBB10_28:                              ;   Parent Loop BB10_12 Depth=1
                                        ; =>  This Loop Header: Depth=2
                                        ;       Child Loop BB10_31 Depth 3
	s_and_saveexec_b64 s[56:57], s[4:5]
	s_cbranch_execz .LBB10_27
; %bb.29:                               ;   in Loop: Header=BB10_28 Depth=2
	s_mov_b64 s[58:59], 0
	v_mov_b32_e32 v17, v16
	v_mov_b32_e32 v30, v18
	s_branch .LBB10_31
.LBB10_30:                              ;   in Loop: Header=BB10_31 Depth=3
	v_ashrrev_i32_e32 v15, 31, v14
	v_lshl_add_u64 v[14:15], v[14:15], 3, s[20:21]
	global_load_dwordx2 v[14:15], v[14:15], off
	v_add_u32_e32 v30, 4, v30
	v_cmp_le_i32_e32 vcc, s15, v30
	s_or_b64 s[58:59], vcc, s[58:59]
	s_waitcnt vmcnt(0)
	ds_write_b64 v17, v[14:15]
	v_add_u32_e32 v17, 0x220, v17
	s_andn2_b64 exec, exec, s[58:59]
	s_cbranch_execz .LBB10_27
.LBB10_31:                              ;   Parent Loop BB10_12 Depth=1
                                        ;     Parent Loop BB10_28 Depth=2
                                        ; =>    This Inner Loop Header: Depth=3
	s_and_b64 vcc, exec, s[46:47]
	s_cbranch_vccz .LBB10_33
; %bb.32:                               ;   in Loop: Header=BB10_31 Depth=3
	v_add_u32_e32 v14, s63, v30
	v_mad_u64_u32 v[14:15], s[60:61], v14, s15, v[12:13]
	s_cbranch_execnz .LBB10_30
	s_branch .LBB10_34
.LBB10_33:                              ;   in Loop: Header=BB10_31 Depth=3
                                        ; implicit-def: $vgpr14
.LBB10_34:                              ;   in Loop: Header=BB10_31 Depth=3
	v_add_u32_e32 v14, v13, v30
	s_branch .LBB10_30
.LBB10_35:                              ;   in Loop: Header=BB10_12 Depth=1
	s_or_b64 exec, exec, s[12:13]
	s_andn2_b64 vcc, exec, s[48:49]
	s_waitcnt lgkmcnt(0)
	s_cbranch_vccnz .LBB10_67
; %bb.36:                               ;   in Loop: Header=BB10_12 Depth=1
	s_andn2_b64 vcc, exec, s[50:51]
	s_mov_b32 s56, 0
	s_cbranch_vccnz .LBB10_57
; %bb.37:                               ;   in Loop: Header=BB10_12 Depth=1
	s_mov_b32 s63, 0
	v_mov_b32_e32 v16, v26
	v_mov_b32_e32 v17, v25
	;; [unrolled: 1-line block ×4, first 2 shown]
	s_branch .LBB10_40
.LBB10_38:                              ;   in Loop: Header=BB10_40 Depth=2
	s_or_b64 exec, exec, s[56:57]
.LBB10_39:                              ;   in Loop: Header=BB10_40 Depth=2
	s_or_b64 exec, exec, s[54:55]
	s_add_i32 s63, s63, 2
	v_add_u32_e32 v31, 0x110, v31
	v_add_u32_e32 v30, 0x120, v30
	;; [unrolled: 1-line block ×4, first 2 shown]
	s_cmp_eq_u32 s63, s39
	s_mov_b32 s56, s39
	s_waitcnt lgkmcnt(0)
	s_cbranch_scc1 .LBB10_57
.LBB10_40:                              ;   Parent Loop BB10_12 Depth=1
                                        ; =>  This Loop Header: Depth=2
                                        ;       Child Loop BB10_45 Depth 3
                                        ;         Child Loop BB10_49 Depth 4
                                        ;       Child Loop BB10_52 Depth 3
                                        ;         Child Loop BB10_56 Depth 4
	s_and_saveexec_b64 s[12:13], s[2:3]
	s_xor_b64 s[12:13], exec, s[12:13]
; %bb.41:                               ;   in Loop: Header=BB10_40 Depth=2
; %bb.42:                               ;   in Loop: Header=BB10_40 Depth=2
	s_andn2_saveexec_b64 s[54:55], s[12:13]
	s_cbranch_execz .LBB10_39
; %bb.43:                               ;   in Loop: Header=BB10_40 Depth=2
	s_mul_i32 s66, s63, 0x88
	s_lshl_b32 s12, s63, 3
	s_add_i32 s67, s66, s12
	v_mov_b32_e32 v12, s67
	ds_read_b64 v[12:13], v12
	v_add_u32_e32 v32, s63, v19
	s_addk_i32 s66, 0x880
	v_cmp_gt_i32_e64 s[12:13], s15, v32
	s_mov_b64 s[56:57], 0
	v_mov_b32_e32 v33, v31
	v_mov_b32_e32 v34, v11
	s_branch .LBB10_45
.LBB10_44:                              ;   in Loop: Header=BB10_45 Depth=3
	s_or_b64 exec, exec, s[58:59]
	v_add_u32_e32 v34, 16, v34
	v_cmp_le_i32_e32 vcc, s15, v34
	s_or_b64 s[56:57], vcc, s[56:57]
	v_add_u32_e32 v33, 0x80, v33
	s_andn2_b64 exec, exec, s[56:57]
	s_cbranch_execz .LBB10_50
.LBB10_45:                              ;   Parent Loop BB10_12 Depth=1
                                        ;     Parent Loop BB10_40 Depth=2
                                        ; =>    This Loop Header: Depth=3
                                        ;         Child Loop BB10_49 Depth 4
	v_lshl_add_u32 v35, v34, 3, s66
	ds_read_b64 v[14:15], v35
	s_waitcnt lgkmcnt(0)
	v_div_scale_f64 v[36:37], s[58:59], v[12:13], v[12:13], v[14:15]
	v_rcp_f64_e32 v[38:39], v[36:37]
	v_div_scale_f64 v[40:41], vcc, v[14:15], v[12:13], v[14:15]
	v_fma_f64 v[42:43], -v[36:37], v[38:39], 1.0
	v_fmac_f64_e32 v[38:39], v[38:39], v[42:43]
	v_fma_f64 v[42:43], -v[36:37], v[38:39], 1.0
	v_fmac_f64_e32 v[38:39], v[38:39], v[42:43]
	v_mul_f64 v[42:43], v[40:41], v[38:39]
	v_fma_f64 v[36:37], -v[36:37], v[42:43], v[40:41]
	v_div_fmas_f64 v[36:37], v[36:37], v[38:39], v[42:43]
	v_div_fixup_f64 v[14:15], v[36:37], v[12:13], v[14:15]
	s_and_saveexec_b64 s[58:59], s[6:7]
; %bb.46:                               ;   in Loop: Header=BB10_45 Depth=3
	ds_write_b64 v35, v[14:15]
; %bb.47:                               ;   in Loop: Header=BB10_45 Depth=3
	s_or_b64 exec, exec, s[58:59]
	s_and_saveexec_b64 s[58:59], s[12:13]
	s_cbranch_execz .LBB10_44
; %bb.48:                               ;   in Loop: Header=BB10_45 Depth=3
	s_mov_b64 s[60:61], 0
	v_mov_b32_e32 v35, v30
	v_mov_b32_e32 v36, v33
	;; [unrolled: 1-line block ×3, first 2 shown]
.LBB10_49:                              ;   Parent Loop BB10_12 Depth=1
                                        ;     Parent Loop BB10_40 Depth=2
                                        ;       Parent Loop BB10_45 Depth=3
                                        ; =>      This Inner Loop Header: Depth=4
	ds_read_b64 v[38:39], v35
	ds_read_b64 v[40:41], v36
	v_add_u32_e32 v37, 4, v37
	v_cmp_le_i32_e32 vcc, s15, v37
	s_or_b64 s[60:61], vcc, s[60:61]
	v_add_u32_e32 v35, 0x220, v35
	s_waitcnt lgkmcnt(0)
	v_fma_f64 v[38:39], -v[14:15], v[38:39], v[40:41]
	ds_write_b64 v36, v[38:39]
	v_add_u32_e32 v36, 0x220, v36
	s_andn2_b64 exec, exec, s[60:61]
	s_cbranch_execnz .LBB10_49
	s_branch .LBB10_44
.LBB10_50:                              ;   in Loop: Header=BB10_40 Depth=2
	s_or_b64 exec, exec, s[56:57]
	v_mov_b32_e32 v12, s67
	s_waitcnt lgkmcnt(0)
	ds_read_b64 v[12:13], v12 offset:144
	v_add3_u32 v32, v19, s63, 1
	v_cmp_gt_i32_e64 s[12:13], s15, v32
	s_mov_b64 s[56:57], 0
	v_mov_b32_e32 v33, v16
	v_mov_b32_e32 v34, v11
	s_branch .LBB10_52
.LBB10_51:                              ;   in Loop: Header=BB10_52 Depth=3
	s_or_b64 exec, exec, s[58:59]
	v_add_u32_e32 v34, 16, v34
	v_cmp_le_i32_e32 vcc, s15, v34
	s_or_b64 s[56:57], vcc, s[56:57]
	v_add_u32_e32 v33, 0x80, v33
	s_andn2_b64 exec, exec, s[56:57]
	s_cbranch_execz .LBB10_38
.LBB10_52:                              ;   Parent Loop BB10_12 Depth=1
                                        ;     Parent Loop BB10_40 Depth=2
                                        ; =>    This Loop Header: Depth=3
                                        ;         Child Loop BB10_56 Depth 4
	v_lshl_add_u32 v35, v34, 3, s66
	ds_read_b64 v[14:15], v35 offset:136
	s_waitcnt lgkmcnt(0)
	v_div_scale_f64 v[36:37], s[58:59], v[12:13], v[12:13], v[14:15]
	v_rcp_f64_e32 v[38:39], v[36:37]
	v_div_scale_f64 v[40:41], vcc, v[14:15], v[12:13], v[14:15]
	v_fma_f64 v[42:43], -v[36:37], v[38:39], 1.0
	v_fmac_f64_e32 v[38:39], v[38:39], v[42:43]
	v_fma_f64 v[42:43], -v[36:37], v[38:39], 1.0
	v_fmac_f64_e32 v[38:39], v[38:39], v[42:43]
	v_mul_f64 v[42:43], v[40:41], v[38:39]
	v_fma_f64 v[36:37], -v[36:37], v[42:43], v[40:41]
	v_div_fmas_f64 v[36:37], v[36:37], v[38:39], v[42:43]
	v_div_fixup_f64 v[14:15], v[36:37], v[12:13], v[14:15]
	s_and_saveexec_b64 s[58:59], s[6:7]
; %bb.53:                               ;   in Loop: Header=BB10_52 Depth=3
	ds_write_b64 v35, v[14:15] offset:136
; %bb.54:                               ;   in Loop: Header=BB10_52 Depth=3
	s_or_b64 exec, exec, s[58:59]
	s_and_saveexec_b64 s[58:59], s[12:13]
	s_cbranch_execz .LBB10_51
; %bb.55:                               ;   in Loop: Header=BB10_52 Depth=3
	s_mov_b64 s[60:61], 0
	v_mov_b32_e32 v35, v33
	v_mov_b32_e32 v36, v17
	;; [unrolled: 1-line block ×3, first 2 shown]
.LBB10_56:                              ;   Parent Loop BB10_12 Depth=1
                                        ;     Parent Loop BB10_40 Depth=2
                                        ;       Parent Loop BB10_52 Depth=3
                                        ; =>      This Inner Loop Header: Depth=4
	ds_read_b64 v[38:39], v36
	ds_read_b64 v[40:41], v35
	v_add_u32_e32 v37, 4, v37
	v_cmp_le_i32_e32 vcc, s15, v37
	v_add_u32_e32 v36, 0x220, v36
	s_or_b64 s[60:61], vcc, s[60:61]
	s_waitcnt lgkmcnt(0)
	v_fma_f64 v[38:39], -v[14:15], v[38:39], v[40:41]
	ds_write_b64 v35, v[38:39]
	v_add_u32_e32 v35, 0x220, v35
	s_andn2_b64 exec, exec, s[60:61]
	s_cbranch_execnz .LBB10_56
	s_branch .LBB10_51
.LBB10_57:                              ;   in Loop: Header=BB10_12 Depth=1
	s_andn2_b64 vcc, exec, s[52:53]
	s_cbranch_vccnz .LBB10_67
; %bb.58:                               ;   in Loop: Header=BB10_12 Depth=1
	s_and_saveexec_b64 s[54:55], s[0:1]
	s_cbranch_execz .LBB10_66
; %bb.59:                               ;   in Loop: Header=BB10_12 Depth=1
	s_mul_i32 s63, s56, 0x88
	s_lshl_b32 s12, s56, 3
	s_add_i32 s12, s63, s12
	v_mov_b32_e32 v12, s12
	ds_read_b64 v[12:13], v12
	v_add_u32_e32 v14, s56, v18
	v_add_u32_e32 v30, s56, v19
	v_mad_u64_u32 v[14:15], s[58:59], v14, s65, v[10:11]
	s_mulk_i32 s56, 0x90
	s_addk_i32 s63, 0x880
	v_cmp_gt_i32_e64 s[12:13], s15, v30
	v_add_u32_e32 v15, s56, v24
	s_mov_b64 s[56:57], 0
	v_mov_b32_e32 v31, v11
	s_branch .LBB10_61
.LBB10_60:                              ;   in Loop: Header=BB10_61 Depth=2
	s_or_b64 exec, exec, s[58:59]
	v_add_u32_e32 v31, 16, v31
	v_cmp_le_i32_e32 vcc, s15, v31
	s_or_b64 s[56:57], vcc, s[56:57]
	v_add_u32_e32 v14, 0x80, v14
	s_andn2_b64 exec, exec, s[56:57]
	s_cbranch_execz .LBB10_66
.LBB10_61:                              ;   Parent Loop BB10_12 Depth=1
                                        ; =>  This Loop Header: Depth=2
                                        ;       Child Loop BB10_65 Depth 3
	v_lshl_add_u32 v32, v31, 3, s63
	ds_read_b64 v[16:17], v32
	s_waitcnt lgkmcnt(0)
	v_div_scale_f64 v[34:35], s[58:59], v[12:13], v[12:13], v[16:17]
	v_rcp_f64_e32 v[36:37], v[34:35]
	v_div_scale_f64 v[38:39], vcc, v[16:17], v[12:13], v[16:17]
	v_fma_f64 v[40:41], -v[34:35], v[36:37], 1.0
	v_fmac_f64_e32 v[36:37], v[36:37], v[40:41]
	v_fma_f64 v[40:41], -v[34:35], v[36:37], 1.0
	v_fmac_f64_e32 v[36:37], v[36:37], v[40:41]
	v_mul_f64 v[40:41], v[38:39], v[36:37]
	v_fma_f64 v[34:35], -v[34:35], v[40:41], v[38:39]
	v_div_fmas_f64 v[34:35], v[34:35], v[36:37], v[40:41]
	v_div_fixup_f64 v[16:17], v[34:35], v[12:13], v[16:17]
	s_and_saveexec_b64 s[58:59], s[6:7]
; %bb.62:                               ;   in Loop: Header=BB10_61 Depth=2
	ds_write_b64 v32, v[16:17]
; %bb.63:                               ;   in Loop: Header=BB10_61 Depth=2
	s_or_b64 exec, exec, s[58:59]
	s_and_saveexec_b64 s[58:59], s[12:13]
	s_cbranch_execz .LBB10_60
; %bb.64:                               ;   in Loop: Header=BB10_61 Depth=2
	s_mov_b64 s[60:61], 0
	v_mov_b32_e32 v32, v15
	v_mov_b32_e32 v33, v14
	;; [unrolled: 1-line block ×3, first 2 shown]
.LBB10_65:                              ;   Parent Loop BB10_12 Depth=1
                                        ;     Parent Loop BB10_61 Depth=2
                                        ; =>    This Inner Loop Header: Depth=3
	ds_read_b64 v[36:37], v32
	ds_read_b64 v[38:39], v33
	v_add_u32_e32 v34, 4, v34
	v_cmp_le_i32_e32 vcc, s15, v34
	s_or_b64 s[60:61], vcc, s[60:61]
	v_add_u32_e32 v32, 0x220, v32
	s_waitcnt lgkmcnt(0)
	v_fma_f64 v[36:37], -v[16:17], v[36:37], v[38:39]
	ds_write_b64 v33, v[36:37]
	v_add_u32_e32 v33, 0x220, v33
	s_andn2_b64 exec, exec, s[60:61]
	s_cbranch_execnz .LBB10_65
	s_branch .LBB10_60
.LBB10_66:                              ;   in Loop: Header=BB10_12 Depth=1
	s_or_b64 exec, exec, s[54:55]
	s_waitcnt lgkmcnt(0)
.LBB10_67:                              ;   in Loop: Header=BB10_12 Depth=1
	s_and_saveexec_b64 s[12:13], s[0:1]
	s_cbranch_execz .LBB10_77
; %bb.68:                               ;   in Loop: Header=BB10_12 Depth=1
	s_mul_i32 s63, s44, s15
	s_mov_b64 s[54:55], 0
	v_mov_b32_e32 v13, v22
	v_mov_b32_e32 v30, v7
	;; [unrolled: 1-line block ×3, first 2 shown]
	s_branch .LBB10_70
.LBB10_69:                              ;   in Loop: Header=BB10_70 Depth=2
	s_or_b64 exec, exec, s[56:57]
	v_add_u32_e32 v12, 16, v12
	v_cmp_le_i32_e32 vcc, s15, v12
	v_add_u32_e32 v30, s64, v30
	s_or_b64 s[54:55], vcc, s[54:55]
	v_add_u32_e32 v13, 0x80, v13
	s_andn2_b64 exec, exec, s[54:55]
	s_cbranch_execz .LBB10_77
.LBB10_70:                              ;   Parent Loop BB10_12 Depth=1
                                        ; =>  This Loop Header: Depth=2
                                        ;       Child Loop BB10_73 Depth 3
	s_and_saveexec_b64 s[56:57], s[4:5]
	s_cbranch_execz .LBB10_69
; %bb.71:                               ;   in Loop: Header=BB10_70 Depth=2
	s_mov_b64 s[58:59], 0
	v_mov_b32_e32 v31, v13
	v_mov_b32_e32 v32, v18
	s_branch .LBB10_73
.LBB10_72:                              ;   in Loop: Header=BB10_73 Depth=3
	v_add_u32_e32 v32, 4, v32
	v_ashrrev_i32_e32 v17, 31, v16
	v_cmp_le_i32_e32 vcc, s15, v32
	v_lshl_add_u64 v[16:17], v[16:17], 3, s[20:21]
	s_or_b64 s[58:59], vcc, s[58:59]
	v_add_u32_e32 v31, 0x220, v31
	s_waitcnt lgkmcnt(0)
	global_store_dwordx2 v[16:17], v[14:15], off
	s_andn2_b64 exec, exec, s[58:59]
	s_cbranch_execz .LBB10_69
.LBB10_73:                              ;   Parent Loop BB10_12 Depth=1
                                        ;     Parent Loop BB10_70 Depth=2
                                        ; =>    This Inner Loop Header: Depth=3
	ds_read_b64 v[14:15], v31
	s_and_b64 vcc, exec, s[46:47]
	s_cbranch_vccz .LBB10_75
; %bb.74:                               ;   in Loop: Header=BB10_73 Depth=3
	v_add_u32_e32 v16, s63, v32
	v_mad_u64_u32 v[16:17], s[60:61], v16, s15, v[12:13]
	s_cbranch_execnz .LBB10_72
	s_branch .LBB10_76
.LBB10_75:                              ;   in Loop: Header=BB10_73 Depth=3
                                        ; implicit-def: $vgpr16
.LBB10_76:                              ;   in Loop: Header=BB10_73 Depth=3
	v_add_u32_e32 v16, v30, v32
	s_branch .LBB10_72
.LBB10_77:                              ;   in Loop: Header=BB10_12 Depth=1
	s_or_b64 exec, exec, s[12:13]
	s_sub_i32 s66, s62, s14
	s_add_i32 s12, s45, 1
	s_cmp_ge_i32 s12, s66
	s_cbranch_scc1 .LBB10_11
; %bb.78:                               ;   in Loop: Header=BB10_12 Depth=1
	s_mul_i32 s13, s15, s12
	v_add_u32_e32 v12, s13, v11
	v_mul_lo_u32 v30, s15, v12
	s_branch .LBB10_82
.LBB10_79:                              ;   in Loop: Header=BB10_82 Depth=2
	s_or_b64 exec, exec, s[56:57]
.LBB10_80:                              ;   in Loop: Header=BB10_82 Depth=2
	s_or_b64 exec, exec, s[54:55]
.LBB10_81:                              ;   in Loop: Header=BB10_82 Depth=2
	s_add_i32 s12, s12, 1
	s_cmp_lt_i32 s12, s66
	v_add_u32_e32 v30, s41, v30
	s_waitcnt lgkmcnt(0)
	s_cbranch_scc0 .LBB10_11
.LBB10_82:                              ;   Parent Loop BB10_12 Depth=1
                                        ; =>  This Loop Header: Depth=2
                                        ;       Child Loop BB10_87 Depth 3
                                        ;       Child Loop BB10_96 Depth 3
                                        ;         Child Loop BB10_99 Depth 4
                                        ;       Child Loop BB10_105 Depth 3
                                        ;         Child Loop BB10_108 Depth 4
                                        ;           Child Loop BB10_109 Depth 5
	s_ashr_i32 s13, s12, 31
	s_lshl_b64 s[54:55], s[12:13], 2
	s_add_u32 s54, s18, s54
	s_addc_u32 s55, s19, s55
	global_load_dword v12, v28, s[54:55]
	v_mov_b32_e32 v13, s33
	s_and_saveexec_b64 s[54:55], s[8:9]
	s_cbranch_execz .LBB10_84
; %bb.83:                               ;   in Loop: Header=BB10_82 Depth=2
	global_load_dword v13, v[8:9], off
	s_waitcnt vmcnt(0)
	v_subrev_u32_e32 v13, s14, v13
.LBB10_84:                              ;   in Loop: Header=BB10_82 Depth=2
	s_or_b64 exec, exec, s[54:55]
	s_waitcnt vmcnt(0)
	v_subrev_u32_e32 v14, s14, v12
	v_cmp_lt_i32_e32 vcc, v13, v14
	v_mov_b32_e32 v15, v6
	s_and_saveexec_b64 s[54:55], vcc
	s_cbranch_execz .LBB10_90
; %bb.85:                               ;   in Loop: Header=BB10_82 Depth=2
	s_mov_b64 s[56:57], 0
	v_mov_b32_e32 v12, v6
	s_branch .LBB10_87
.LBB10_86:                              ;   in Loop: Header=BB10_87 Depth=3
	s_or_b64 exec, exec, s[58:59]
	v_cmp_ge_i32_e32 vcc, v13, v14
	s_or_b64 s[56:57], vcc, s[56:57]
	v_mov_b32_e32 v12, v15
	s_andn2_b64 exec, exec, s[56:57]
	s_cbranch_execz .LBB10_89
.LBB10_87:                              ;   Parent Loop BB10_12 Depth=1
                                        ;     Parent Loop BB10_82 Depth=2
                                        ; =>    This Inner Loop Header: Depth=3
	v_add_u32_e32 v15, 64, v12
	v_cmp_gt_i32_e32 vcc, s31, v15
	v_mov_b32_e32 v13, s33
	s_and_saveexec_b64 s[58:59], vcc
	s_cbranch_execz .LBB10_86
; %bb.88:                               ;   in Loop: Header=BB10_87 Depth=3
	v_ashrrev_i32_e32 v13, 31, v12
	v_lshl_add_u64 v[12:13], v[12:13], 2, s[18:19]
	global_load_dword v12, v[12:13], off offset:256
	s_waitcnt vmcnt(0)
	v_subrev_u32_e32 v13, s14, v12
	s_branch .LBB10_86
.LBB10_89:                              ;   in Loop: Header=BB10_82 Depth=2
	s_or_b64 exec, exec, s[56:57]
.LBB10_90:                              ;   in Loop: Header=BB10_82 Depth=2
	s_or_b64 exec, exec, s[54:55]
	v_cmp_eq_u32_e32 vcc, v13, v14
	s_cbranch_vccz .LBB10_81
; %bb.91:                               ;   in Loop: Header=BB10_82 Depth=2
	s_ff1_i32_b64 s13, vcc
	v_and_or_b32 v12, v29, 64, s13
	v_lshlrev_b32_e32 v12, 2, v12
	ds_bpermute_b32 v13, v12, v15
	s_and_saveexec_b64 s[54:55], s[2:3]
	s_xor_b64 s[54:55], exec, s[54:55]
	s_cbranch_execz .LBB10_93
; %bb.92:                               ;   in Loop: Header=BB10_82 Depth=2
	s_waitcnt lgkmcnt(0)
                                        ; implicit-def: $vgpr13
.LBB10_93:                              ;   in Loop: Header=BB10_82 Depth=2
	s_andn2_saveexec_b64 s[54:55], s[54:55]
	s_cbranch_execz .LBB10_80
; %bb.94:                               ;   in Loop: Header=BB10_82 Depth=2
	s_mul_i32 s13, s12, s15
	s_mov_b64 s[56:57], 0
	v_mov_b32_e32 v16, v21
	v_mov_b32_e32 v17, v30
	;; [unrolled: 1-line block ×3, first 2 shown]
	s_branch .LBB10_96
.LBB10_95:                              ;   in Loop: Header=BB10_96 Depth=3
	s_or_b64 exec, exec, s[58:59]
	v_add_u32_e32 v12, 16, v12
	v_cmp_le_i32_e32 vcc, s15, v12
	v_add_u32_e32 v17, s64, v17
	s_or_b64 s[56:57], vcc, s[56:57]
	v_add_u32_e32 v16, 0x80, v16
	s_andn2_b64 exec, exec, s[56:57]
	s_cbranch_execz .LBB10_103
.LBB10_96:                              ;   Parent Loop BB10_12 Depth=1
                                        ;     Parent Loop BB10_82 Depth=2
                                        ; =>    This Loop Header: Depth=3
                                        ;         Child Loop BB10_99 Depth 4
	s_and_saveexec_b64 s[58:59], s[4:5]
	s_cbranch_execz .LBB10_95
; %bb.97:                               ;   in Loop: Header=BB10_96 Depth=3
	s_mov_b64 s[60:61], 0
	v_mov_b32_e32 v31, v16
	v_mov_b32_e32 v32, v18
	s_branch .LBB10_99
.LBB10_98:                              ;   in Loop: Header=BB10_99 Depth=4
	v_ashrrev_i32_e32 v15, 31, v14
	v_lshl_add_u64 v[14:15], v[14:15], 3, s[20:21]
	global_load_dwordx2 v[14:15], v[14:15], off
	v_add_u32_e32 v32, 4, v32
	v_cmp_le_i32_e32 vcc, s15, v32
	s_or_b64 s[60:61], vcc, s[60:61]
	s_waitcnt vmcnt(0)
	ds_write_b64 v31, v[14:15]
	v_add_u32_e32 v31, 0x220, v31
	s_andn2_b64 exec, exec, s[60:61]
	s_cbranch_execz .LBB10_95
.LBB10_99:                              ;   Parent Loop BB10_12 Depth=1
                                        ;     Parent Loop BB10_82 Depth=2
                                        ;       Parent Loop BB10_96 Depth=3
                                        ; =>      This Inner Loop Header: Depth=4
	s_and_b64 vcc, exec, s[46:47]
	s_cbranch_vccz .LBB10_101
; %bb.100:                              ;   in Loop: Header=BB10_99 Depth=4
	v_add_u32_e32 v14, s13, v32
	s_waitcnt lgkmcnt(0)
	v_mad_u64_u32 v[14:15], s[62:63], v14, s15, v[12:13]
	s_cbranch_execnz .LBB10_98
	s_branch .LBB10_102
.LBB10_101:                             ;   in Loop: Header=BB10_99 Depth=4
                                        ; implicit-def: $vgpr14
.LBB10_102:                             ;   in Loop: Header=BB10_99 Depth=4
	v_add_u32_e32 v14, v17, v32
	s_branch .LBB10_98
.LBB10_103:                             ;   in Loop: Header=BB10_82 Depth=2
	s_or_b64 exec, exec, s[56:57]
	s_waitcnt lgkmcnt(0)
	v_mul_lo_u32 v13, v13, s15
	s_mov_b64 s[56:57], 0
	v_mov_b32_e32 v31, v27
	v_mov_b32_e32 v12, v11
	s_branch .LBB10_105
.LBB10_104:                             ;   in Loop: Header=BB10_105 Depth=3
	s_or_b64 exec, exec, s[58:59]
	v_add_u32_e32 v12, 16, v12
	v_cmp_le_i32_e32 vcc, s15, v12
	s_or_b64 s[56:57], vcc, s[56:57]
	v_add_u32_e32 v31, 0x80, v31
	s_andn2_b64 exec, exec, s[56:57]
	s_cbranch_execz .LBB10_79
.LBB10_105:                             ;   Parent Loop BB10_12 Depth=1
                                        ;     Parent Loop BB10_82 Depth=2
                                        ; =>    This Loop Header: Depth=3
                                        ;         Child Loop BB10_108 Depth 4
                                        ;           Child Loop BB10_109 Depth 5
	s_and_saveexec_b64 s[58:59], s[4:5]
	s_cbranch_execz .LBB10_104
; %bb.106:                              ;   in Loop: Header=BB10_105 Depth=3
	v_add_u32_e32 v14, v12, v13
	v_mul_lo_u32 v32, v14, s15
	s_mov_b64 s[60:61], 0
	v_mov_b32_e32 v33, v20
	v_mov_b32_e32 v34, v18
	s_branch .LBB10_108
.LBB10_107:                             ;   in Loop: Header=BB10_108 Depth=4
	v_ashrrev_i32_e32 v17, 31, v16
	v_lshl_add_u64 v[16:17], v[16:17], 3, s[20:21]
	global_load_dwordx2 v[36:37], v[16:17], off
	v_add_u32_e32 v34, 4, v34
	v_cmp_le_i32_e32 vcc, s15, v34
	s_or_b64 s[60:61], vcc, s[60:61]
	v_add_u32_e32 v33, 0x220, v33
	s_waitcnt vmcnt(0)
	v_add_f64 v[14:15], v[36:37], -v[14:15]
	global_store_dwordx2 v[16:17], v[14:15], off
	s_andn2_b64 exec, exec, s[60:61]
	s_cbranch_execz .LBB10_104
.LBB10_108:                             ;   Parent Loop BB10_12 Depth=1
                                        ;     Parent Loop BB10_82 Depth=2
                                        ;       Parent Loop BB10_105 Depth=3
                                        ; =>      This Loop Header: Depth=4
                                        ;           Child Loop BB10_109 Depth 5
	v_mov_b64_e32 v[14:15], 0
	v_mov_b32_e32 v16, v31
	v_mov_b32_e32 v17, v33
	s_mov_b32 s13, s15
.LBB10_109:                             ;   Parent Loop BB10_12 Depth=1
                                        ;     Parent Loop BB10_82 Depth=2
                                        ;       Parent Loop BB10_105 Depth=3
                                        ;         Parent Loop BB10_108 Depth=4
                                        ; =>        This Inner Loop Header: Depth=5
	ds_read_b64 v[36:37], v16
	ds_read_b64 v[38:39], v17
	s_add_i32 s13, s13, -1
	v_add_u32_e32 v17, 8, v17
	v_add_u32_e32 v16, 0x88, v16
	s_cmp_eq_u32 s13, 0
	s_waitcnt lgkmcnt(0)
	v_fmac_f64_e32 v[14:15], v[36:37], v[38:39]
	s_cbranch_scc0 .LBB10_109
; %bb.110:                              ;   in Loop: Header=BB10_108 Depth=4
	s_and_b64 vcc, exec, s[46:47]
	s_cbranch_vccz .LBB10_112
; %bb.111:                              ;   in Loop: Header=BB10_108 Depth=4
	v_add_u32_e32 v16, v34, v13
	v_mad_u64_u32 v[16:17], s[62:63], v16, s15, v[12:13]
	s_cbranch_execnz .LBB10_107
	s_branch .LBB10_113
.LBB10_112:                             ;   in Loop: Header=BB10_108 Depth=4
                                        ; implicit-def: $vgpr16
.LBB10_113:                             ;   in Loop: Header=BB10_108 Depth=4
	v_add_u32_e32 v16, v34, v32
	s_branch .LBB10_107
.LBB10_114:
	s_ashr_i32 s39, s38, 31
	s_lshl_b64 s[0:1], s[38:39], 2
	s_add_u32 s0, s18, s0
	s_addc_u32 s1, s19, s1
	v_mov_b32_e32 v6, 0
	global_load_dword v6, v6, s[0:1]
	s_waitcnt vmcnt(0)
	v_subrev_u32_e32 v6, s14, v6
	v_cmp_ne_u32_e32 vcc, s30, v6
	s_cbranch_vccnz .LBB10_159
; %bb.115:
	v_and_b32_e32 v6, 0x3ff, v0
	v_cmp_gt_i32_e64 s[0:1], s15, v6
	v_lshlrev_b32_e32 v7, 3, v6
	s_and_saveexec_b64 s[4:5], s[0:1]
	s_cbranch_execz .LBB10_126
; %bb.116:
	s_mul_i32 s18, s38, s15
	v_bfe_u32 v9, v0, 10, 10
	s_cmp_lg_u32 s40, 0
	v_add_u32_e32 v8, s18, v6
	s_movk_i32 s8, 0x88
	v_cmp_gt_u32_e64 s[2:3], s15, v9
	s_cselect_b64 s[6:7], -1, 0
	v_mul_lo_u32 v12, s15, v8
	s_lshl_b32 s19, s15, 4
	v_mad_u32_u24 v13, v9, s8, v7
	s_mov_b64 s[8:9], 0
	v_mov_b32_e32 v8, v6
	s_branch .LBB10_118
.LBB10_117:                             ;   in Loop: Header=BB10_118 Depth=1
	s_or_b64 exec, exec, s[10:11]
	v_add_u32_e32 v8, 16, v8
	v_cmp_le_i32_e32 vcc, s15, v8
	v_add_u32_e32 v12, s19, v12
	s_or_b64 s[8:9], vcc, s[8:9]
	v_add_u32_e32 v13, 0x80, v13
	s_andn2_b64 exec, exec, s[8:9]
	s_cbranch_execz .LBB10_126
.LBB10_118:                             ; =>This Loop Header: Depth=1
                                        ;     Child Loop BB10_121 Depth 2
	s_and_saveexec_b64 s[10:11], s[2:3]
	s_cbranch_execz .LBB10_117
; %bb.119:                              ;   in Loop: Header=BB10_118 Depth=1
	s_mov_b64 s[12:13], 0
	v_mov_b32_e32 v14, v13
	v_mov_b32_e32 v15, v9
	s_branch .LBB10_121
.LBB10_120:                             ;   in Loop: Header=BB10_121 Depth=2
	v_ashrrev_i32_e32 v11, 31, v10
	v_lshl_add_u64 v[10:11], v[10:11], 3, s[20:21]
	global_load_dwordx2 v[10:11], v[10:11], off
	v_add_u32_e32 v15, 4, v15
	v_cmp_le_i32_e32 vcc, s15, v15
	s_or_b64 s[12:13], vcc, s[12:13]
	s_waitcnt vmcnt(0)
	ds_write_b64 v14, v[10:11]
	v_add_u32_e32 v14, 0x220, v14
	s_andn2_b64 exec, exec, s[12:13]
	s_cbranch_execz .LBB10_117
.LBB10_121:                             ;   Parent Loop BB10_118 Depth=1
                                        ; =>  This Inner Loop Header: Depth=2
	s_and_b64 vcc, exec, s[6:7]
	s_cbranch_vccz .LBB10_123
; %bb.122:                              ;   in Loop: Header=BB10_121 Depth=2
	v_add_u32_e32 v10, s18, v15
	v_mad_u64_u32 v[10:11], s[16:17], v10, s15, v[8:9]
	s_cbranch_execnz .LBB10_120
	s_branch .LBB10_124
.LBB10_123:                             ;   in Loop: Header=BB10_121 Depth=2
                                        ; implicit-def: $vgpr10
.LBB10_124:                             ;   in Loop: Header=BB10_121 Depth=2
	v_add_u32_e32 v10, v12, v15
	s_branch .LBB10_120
.LBB10_125:
	s_mov_b64 s[36:37], -1
	s_branch .LBB10_211
.LBB10_126:
	s_or_b64 exec, exec, s[4:5]
	s_cmp_lt_i32 s15, 1
	s_waitcnt lgkmcnt(0)
	s_cbranch_scc1 .LBB10_148
; %bb.127:
	s_cmp_eq_u64 s[24:25], 8
	v_cvt_f64_f32_e32 v[8:9], v1
	s_cselect_b64 vcc, -1, 0
	v_bfe_u32 v1, v0, 10, 10
	v_cndmask_b32_e32 v4, v8, v4, vcc
	v_or_b32_e32 v8, v6, v1
	v_cmp_eq_u32_e64 s[2:3], 0, v8
	v_mul_u32_u24_e32 v8, 0x88, v1
	s_movk_i32 s7, 0x90
	s_movk_i32 s6, 0x88
	v_add3_u32 v12, v8, v7, s7
	v_cndmask_b32_e64 v8, 0, 1, s[42:43]
	v_cndmask_b32_e32 v5, v9, v5, vcc
	s_mov_b32 s22, 0
	v_cmp_eq_u32_e64 s[4:5], 0, v1
	v_mad_u32_u24 v13, v1, s6, s6
	v_cmp_ne_u32_e64 s[6:7], 1, v8
.LBB10_128:                             ; =>This Loop Header: Depth=1
                                        ;     Child Loop BB10_140 Depth 2
                                        ;       Child Loop BB10_144 Depth 3
	s_mul_i32 s23, s22, 0x88
	s_lshl_b32 s8, s22, 3
	s_add_i32 s12, s23, s8
	v_mov_b32_e32 v8, s12
	s_waitcnt lgkmcnt(0)
	ds_read_b64 v[10:11], v8
	s_mov_b64 s[10:11], -1
	s_and_b64 vcc, exec, s[6:7]
	s_mov_b64 s[8:9], 0
                                        ; implicit-def: $vgpr8_vgpr9
	s_cbranch_vccz .LBB10_133
; %bb.129:                              ;   in Loop: Header=BB10_128 Depth=1
	s_andn2_b64 vcc, exec, s[10:11]
	s_mov_b64 s[10:11], 0
	s_cbranch_vccz .LBB10_136
.LBB10_130:                             ;   in Loop: Header=BB10_128 Depth=1
	s_andn2_b64 vcc, exec, s[8:9]
                                        ; implicit-def: $sgpr24
	s_cbranch_vccz .LBB10_137
.LBB10_131:                             ;   in Loop: Header=BB10_128 Depth=1
	s_andn2_b64 vcc, exec, s[10:11]
	s_cbranch_vccz .LBB10_146
.LBB10_132:                             ;   in Loop: Header=BB10_128 Depth=1
	v_add_u32_e32 v12, 0x90, v12
	s_cmp_eq_u32 s24, s15
	v_add_u32_e32 v13, 0x90, v13
	s_cbranch_scc0 .LBB10_147
	s_branch .LBB10_148
.LBB10_133:                             ;   in Loop: Header=BB10_128 Depth=1
	s_waitcnt lgkmcnt(0)
	v_cmp_ge_f64_e64 vcc, v[4:5], |v[10:11]|
	s_nop 1
	v_cndmask_b32_e32 v9, v11, v3, vcc
	v_cndmask_b32_e32 v8, v10, v2, vcc
	s_and_saveexec_b64 s[8:9], s[2:3]
; %bb.134:                              ;   in Loop: Header=BB10_128 Depth=1
	v_mov_b32_e32 v14, s12
	ds_write_b64 v14, v[8:9]
; %bb.135:                              ;   in Loop: Header=BB10_128 Depth=1
	s_or_b64 exec, exec, s[8:9]
	s_mov_b64 s[8:9], -1
	s_mov_b64 s[10:11], 0
	s_cbranch_execnz .LBB10_130
.LBB10_136:                             ;   in Loop: Header=BB10_128 Depth=1
	s_waitcnt lgkmcnt(0)
	v_cmp_neq_f64_e64 s[8:9], 0, v[10:11]
	s_mov_b64 s[10:11], -1
	v_mov_b64_e32 v[8:9], v[10:11]
	s_andn2_b64 vcc, exec, s[8:9]
                                        ; implicit-def: $sgpr24
	s_cbranch_vccnz .LBB10_131
.LBB10_137:                             ;   in Loop: Header=BB10_128 Depth=1
	s_add_i32 s24, s22, 1
	v_add_u32_e32 v14, s24, v6
	v_cmp_gt_i32_e32 vcc, s15, v14
	s_and_saveexec_b64 s[10:11], vcc
	s_cbranch_execz .LBB10_145
; %bb.138:                              ;   in Loop: Header=BB10_128 Depth=1
	v_add_u32_e32 v15, s24, v1
	v_cmp_gt_i32_e64 s[8:9], s15, v15
	s_mov_b64 s[12:13], 0
	v_mov_b32_e32 v16, v12
	s_branch .LBB10_140
.LBB10_139:                             ;   in Loop: Header=BB10_140 Depth=2
	s_or_b64 exec, exec, s[16:17]
	v_add_u32_e32 v14, 16, v14
	v_cmp_le_i32_e32 vcc, s15, v14
	s_or_b64 s[12:13], vcc, s[12:13]
	v_add_u32_e32 v16, 0x80, v16
	s_andn2_b64 exec, exec, s[12:13]
	s_cbranch_execz .LBB10_145
.LBB10_140:                             ;   Parent Loop BB10_128 Depth=1
                                        ; =>  This Loop Header: Depth=2
                                        ;       Child Loop BB10_144 Depth 3
	v_lshl_add_u32 v17, v14, 3, s23
	s_waitcnt lgkmcnt(0)
	ds_read_b64 v[10:11], v17
	s_waitcnt lgkmcnt(0)
	v_div_scale_f64 v[18:19], s[16:17], v[8:9], v[8:9], v[10:11]
	v_rcp_f64_e32 v[20:21], v[18:19]
	v_div_scale_f64 v[22:23], vcc, v[10:11], v[8:9], v[10:11]
	v_fma_f64 v[24:25], -v[18:19], v[20:21], 1.0
	v_fmac_f64_e32 v[20:21], v[20:21], v[24:25]
	v_fma_f64 v[24:25], -v[18:19], v[20:21], 1.0
	v_fmac_f64_e32 v[20:21], v[20:21], v[24:25]
	v_mul_f64 v[24:25], v[22:23], v[20:21]
	v_fma_f64 v[18:19], -v[18:19], v[24:25], v[22:23]
	v_div_fmas_f64 v[18:19], v[18:19], v[20:21], v[24:25]
	v_div_fixup_f64 v[10:11], v[18:19], v[8:9], v[10:11]
	s_and_saveexec_b64 s[16:17], s[4:5]
; %bb.141:                              ;   in Loop: Header=BB10_140 Depth=2
	ds_write_b64 v17, v[10:11]
; %bb.142:                              ;   in Loop: Header=BB10_140 Depth=2
	s_or_b64 exec, exec, s[16:17]
	s_and_saveexec_b64 s[16:17], s[8:9]
	s_cbranch_execz .LBB10_139
; %bb.143:                              ;   in Loop: Header=BB10_140 Depth=2
	s_mov_b64 s[18:19], 0
	v_mov_b32_e32 v17, v13
	v_mov_b32_e32 v18, v16
	;; [unrolled: 1-line block ×3, first 2 shown]
.LBB10_144:                             ;   Parent Loop BB10_128 Depth=1
                                        ;     Parent Loop BB10_140 Depth=2
                                        ; =>    This Inner Loop Header: Depth=3
	ds_read_b64 v[20:21], v17
	ds_read_b64 v[22:23], v18
	v_add_u32_e32 v19, 4, v19
	v_cmp_le_i32_e32 vcc, s15, v19
	s_or_b64 s[18:19], vcc, s[18:19]
	v_add_u32_e32 v17, 0x220, v17
	s_waitcnt lgkmcnt(0)
	v_fma_f64 v[20:21], -v[10:11], v[20:21], v[22:23]
	ds_write_b64 v18, v[20:21]
	v_add_u32_e32 v18, 0x220, v18
	s_andn2_b64 exec, exec, s[18:19]
	s_cbranch_execnz .LBB10_144
	s_branch .LBB10_139
.LBB10_145:                             ;   in Loop: Header=BB10_128 Depth=1
	s_or_b64 exec, exec, s[10:11]
	s_cbranch_execnz .LBB10_132
.LBB10_146:                             ;   in Loop: Header=BB10_128 Depth=1
	s_add_i32 s24, s22, 1
	s_mov_b64 s[36:37], -1
	v_add_u32_e32 v12, 0x90, v12
	s_cmp_eq_u32 s24, s15
	v_add_u32_e32 v13, 0x90, v13
	s_cbranch_scc1 .LBB10_148
.LBB10_147:                             ;   in Loop: Header=BB10_128 Depth=1
	s_mov_b32 s22, s24
	s_branch .LBB10_128
.LBB10_148:
	s_waitcnt lgkmcnt(0)
	s_and_saveexec_b64 s[2:3], s[0:1]
	s_cbranch_execz .LBB10_158
; %bb.149:
	s_mul_i32 s16, s38, s15
	v_bfe_u32 v1, v0, 10, 10
	s_cmp_lg_u32 s40, 0
	v_add_u32_e32 v2, s16, v6
	s_movk_i32 s6, 0x88
	v_cmp_gt_u32_e64 s[0:1], s15, v1
	s_cselect_b64 s[4:5], -1, 0
	v_mul_lo_u32 v8, s15, v2
	s_lshl_b32 s17, s15, 4
	v_mad_u32_u24 v7, v1, s6, v7
	s_mov_b64 s[6:7], 0
	s_branch .LBB10_151
.LBB10_150:                             ;   in Loop: Header=BB10_151 Depth=1
	s_or_b64 exec, exec, s[8:9]
	v_add_u32_e32 v6, 16, v6
	v_cmp_le_i32_e32 vcc, s15, v6
	v_add_u32_e32 v8, s17, v8
	s_or_b64 s[6:7], vcc, s[6:7]
	v_add_u32_e32 v7, 0x80, v7
	s_andn2_b64 exec, exec, s[6:7]
	s_cbranch_execz .LBB10_158
.LBB10_151:                             ; =>This Loop Header: Depth=1
                                        ;     Child Loop BB10_154 Depth 2
	s_and_saveexec_b64 s[8:9], s[0:1]
	s_cbranch_execz .LBB10_150
; %bb.152:                              ;   in Loop: Header=BB10_151 Depth=1
	s_mov_b64 s[10:11], 0
	v_mov_b32_e32 v9, v7
	v_mov_b32_e32 v10, v1
	s_branch .LBB10_154
.LBB10_153:                             ;   in Loop: Header=BB10_154 Depth=2
	v_add_u32_e32 v10, 4, v10
	v_ashrrev_i32_e32 v5, 31, v4
	v_cmp_le_i32_e32 vcc, s15, v10
	v_lshl_add_u64 v[4:5], v[4:5], 3, s[20:21]
	s_or_b64 s[10:11], vcc, s[10:11]
	v_add_u32_e32 v9, 0x220, v9
	s_waitcnt lgkmcnt(0)
	global_store_dwordx2 v[4:5], v[2:3], off
	s_andn2_b64 exec, exec, s[10:11]
	s_cbranch_execz .LBB10_150
.LBB10_154:                             ;   Parent Loop BB10_151 Depth=1
                                        ; =>  This Inner Loop Header: Depth=2
	ds_read_b64 v[2:3], v9
	s_and_b64 vcc, exec, s[4:5]
	s_cbranch_vccz .LBB10_156
; %bb.155:                              ;   in Loop: Header=BB10_154 Depth=2
	v_add_u32_e32 v4, s16, v10
	v_mad_u64_u32 v[4:5], s[12:13], v4, s15, v[6:7]
	s_cbranch_execnz .LBB10_153
	s_branch .LBB10_157
.LBB10_156:                             ;   in Loop: Header=BB10_154 Depth=2
                                        ; implicit-def: $vgpr4
.LBB10_157:                             ;   in Loop: Header=BB10_154 Depth=2
	v_add_u32_e32 v4, v8, v10
	s_branch .LBB10_153
.LBB10_158:
	s_or_b64 exec, exec, s[2:3]
.LBB10_159:
	s_add_i32 s33, s38, 1
	s_cmp_ge_i32 s33, s31
	s_cbranch_scc1 .LBB10_211
; %bb.160:
	v_and_b32_e32 v1, 0x3ff, v0
	s_mul_i32 s12, s15, s33
	v_bfe_u32 v3, v0, 10, 10
	s_cmp_lg_u32 s40, 0
	v_add_u32_e32 v2, s12, v1
	s_cselect_b64 s[16:17], -1, 0
	s_cmp_gt_i32 s15, 0
	v_mul_lo_u32 v9, s15, v2
	v_mul_u32_u24_e32 v2, 0x88, v3
	v_lshlrev_b32_e32 v4, 3, v1
	s_movk_i32 s12, 0x880
	s_cselect_b64 s[6:7], -1, 0
	s_cmp_lg_u32 s15, 1
	s_movk_i32 s45, 0x88
	v_add3_u32 v10, v2, v4, s12
	v_lshlrev_b32_e32 v2, 3, v3
	s_cselect_b64 s[8:9], -1, 0
	s_and_b32 s42, s15, 0x7ffffffe
	v_mad_u32_u24 v4, v1, s45, v2
	v_add_u32_e32 v12, 8, v2
	v_add_u32_e32 v13, 0x98, v2
	v_mov_b32_e32 v2, 0x888
	s_bitcmp1_b32 s15, 0
	v_mad_u32_u24 v15, v1, s45, v2
	v_cndmask_b32_e64 v2, 0, 1, s[6:7]
	s_cselect_b64 s[10:11], -1, 0
	v_cmp_ne_u32_e64 s[6:7], 1, v2
	v_cndmask_b32_e64 v2, 0, 1, s[8:9]
	v_cmp_ne_u32_e64 s[8:9], 1, v2
	v_cndmask_b32_e64 v2, 0, 1, s[10:11]
	v_cmp_gt_i32_e64 s[0:1], s15, v1
	v_cmp_le_i32_e64 s[2:3], s15, v1
	v_cmp_gt_i32_e64 s[4:5], s15, v3
	v_add_u32_e32 v8, 1, v3
	s_mul_i32 s43, s15, s15
	s_lshl_b32 s44, s15, 4
	v_add_u32_e32 v11, 0x888, v4
	v_add_u32_e32 v14, 0x890, v4
	v_cmp_ne_u32_e64 s[10:11], 1, v2
	s_branch .LBB10_163
.LBB10_161:                             ;   in Loop: Header=BB10_163 Depth=1
	s_or_b64 exec, exec, s[18:19]
.LBB10_162:                             ;   in Loop: Header=BB10_163 Depth=1
	s_or_b64 exec, exec, s[12:13]
	s_add_i32 s33, s33, 1
	s_cmp_ge_i32 s33, s31
	v_add_u32_e32 v9, s43, v9
	s_cbranch_scc1 .LBB10_211
.LBB10_163:                             ; =>This Loop Header: Depth=1
                                        ;     Child Loop BB10_166 Depth 2
                                        ;       Child Loop BB10_169 Depth 3
                                        ;     Child Loop BB10_177 Depth 2
                                        ;       Child Loop BB10_180 Depth 3
                                        ;         Child Loop BB10_182 Depth 4
                                        ;       Child Loop BB10_185 Depth 3
                                        ;         Child Loop BB10_187 Depth 4
                                        ;     Child Loop BB10_194 Depth 2
                                        ;       Child Loop BB10_196 Depth 3
                                        ;     Child Loop BB10_204 Depth 2
                                        ;       Child Loop BB10_207 Depth 3
	s_waitcnt lgkmcnt(0)
	s_and_saveexec_b64 s[12:13], s[0:1]
	s_cbranch_execz .LBB10_173
; %bb.164:                              ;   in Loop: Header=BB10_163 Depth=1
	s_mul_i32 s40, s33, s15
	s_mov_b64 s[18:19], 0
	v_mov_b32_e32 v6, v10
	v_mov_b32_e32 v7, v9
	;; [unrolled: 1-line block ×3, first 2 shown]
	s_branch .LBB10_166
.LBB10_165:                             ;   in Loop: Header=BB10_166 Depth=2
	s_or_b64 exec, exec, s[22:23]
	v_add_u32_e32 v2, 16, v2
	v_cmp_le_i32_e32 vcc, s15, v2
	v_add_u32_e32 v7, s44, v7
	s_or_b64 s[18:19], vcc, s[18:19]
	v_add_u32_e32 v6, 0x80, v6
	s_andn2_b64 exec, exec, s[18:19]
	s_cbranch_execz .LBB10_173
.LBB10_166:                             ;   Parent Loop BB10_163 Depth=1
                                        ; =>  This Loop Header: Depth=2
                                        ;       Child Loop BB10_169 Depth 3
	s_and_saveexec_b64 s[22:23], s[4:5]
	s_cbranch_execz .LBB10_165
; %bb.167:                              ;   in Loop: Header=BB10_166 Depth=2
	s_mov_b64 s[24:25], 0
	v_mov_b32_e32 v16, v6
	v_mov_b32_e32 v17, v3
	s_branch .LBB10_169
.LBB10_168:                             ;   in Loop: Header=BB10_169 Depth=3
	v_ashrrev_i32_e32 v5, 31, v4
	v_lshl_add_u64 v[4:5], v[4:5], 3, s[20:21]
	global_load_dwordx2 v[4:5], v[4:5], off
	v_add_u32_e32 v17, 4, v17
	v_cmp_le_i32_e32 vcc, s15, v17
	s_or_b64 s[24:25], vcc, s[24:25]
	s_waitcnt vmcnt(0)
	ds_write_b64 v16, v[4:5]
	v_add_u32_e32 v16, 0x220, v16
	s_andn2_b64 exec, exec, s[24:25]
	s_cbranch_execz .LBB10_165
.LBB10_169:                             ;   Parent Loop BB10_163 Depth=1
                                        ;     Parent Loop BB10_166 Depth=2
                                        ; =>    This Inner Loop Header: Depth=3
	s_and_b64 vcc, exec, s[16:17]
	s_cbranch_vccz .LBB10_171
; %bb.170:                              ;   in Loop: Header=BB10_169 Depth=3
	v_add_u32_e32 v4, s40, v17
	v_mad_u64_u32 v[4:5], s[38:39], v4, s15, v[2:3]
	s_cbranch_execnz .LBB10_168
	s_branch .LBB10_172
.LBB10_171:                             ;   in Loop: Header=BB10_169 Depth=3
                                        ; implicit-def: $vgpr4
.LBB10_172:                             ;   in Loop: Header=BB10_169 Depth=3
	v_add_u32_e32 v4, v7, v17
	s_branch .LBB10_168
.LBB10_173:                             ;   in Loop: Header=BB10_163 Depth=1
	s_or_b64 exec, exec, s[12:13]
	s_and_b64 vcc, exec, s[6:7]
	s_waitcnt lgkmcnt(0)
	s_cbranch_vccnz .LBB10_197
; %bb.174:                              ;   in Loop: Header=BB10_163 Depth=1
	s_and_b64 vcc, exec, s[8:9]
	s_mov_b32 s24, 0
	s_cbranch_vccnz .LBB10_188
; %bb.175:                              ;   in Loop: Header=BB10_163 Depth=1
	s_mov_b32 s40, 0
	v_mov_b32_e32 v2, v14
	v_mov_b32_e32 v4, v13
	;; [unrolled: 1-line block ×4, first 2 shown]
	s_branch .LBB10_177
.LBB10_176:                             ;   in Loop: Header=BB10_177 Depth=2
	s_or_b64 exec, exec, s[18:19]
	s_add_i32 s40, s40, 2
	v_add_u32_e32 v6, 16, v6
	v_add_u32_e32 v5, 0x120, v5
	v_add_u32_e32 v4, 0x120, v4
	v_add_u32_e32 v2, 16, v2
	s_cmp_eq_u32 s40, s42
	s_mov_b32 s24, s42
	s_cbranch_scc1 .LBB10_188
.LBB10_177:                             ;   Parent Loop BB10_163 Depth=1
                                        ; =>  This Loop Header: Depth=2
                                        ;       Child Loop BB10_180 Depth 3
                                        ;         Child Loop BB10_182 Depth 4
                                        ;       Child Loop BB10_185 Depth 3
                                        ;         Child Loop BB10_187 Depth 4
	s_and_saveexec_b64 s[18:19], s[0:1]
	s_cbranch_execz .LBB10_176
; %bb.178:                              ;   in Loop: Header=BB10_177 Depth=2
	v_add_u32_e32 v7, s40, v8
	s_lshl_b32 s41, s40, 3
	v_cmp_gt_i32_e32 vcc, s15, v7
	s_mov_b64 s[22:23], 0
	s_addk_i32 s41, 0x880
	v_mov_b32_e32 v16, v6
	v_mov_b32_e32 v17, v1
	s_branch .LBB10_180
.LBB10_179:                             ;   in Loop: Header=BB10_180 Depth=3
	s_or_b64 exec, exec, s[24:25]
	v_add_u32_e32 v17, 16, v17
	v_cmp_le_i32_e64 s[12:13], s15, v17
	s_or_b64 s[22:23], s[12:13], s[22:23]
	v_add_u32_e32 v16, 0x880, v16
	s_andn2_b64 exec, exec, s[22:23]
	s_cbranch_execz .LBB10_183
.LBB10_180:                             ;   Parent Loop BB10_163 Depth=1
                                        ;     Parent Loop BB10_177 Depth=2
                                        ; =>    This Loop Header: Depth=3
                                        ;         Child Loop BB10_182 Depth 4
	s_and_saveexec_b64 s[24:25], vcc
	s_cbranch_execz .LBB10_179
; %bb.181:                              ;   in Loop: Header=BB10_180 Depth=3
	v_mul_lo_u32 v18, v17, s45
	v_add_u32_e32 v18, s41, v18
	s_mov_b64 s[38:39], 0
	v_mov_b32_e32 v19, v5
	v_mov_b32_e32 v20, v16
	v_mov_b32_e32 v21, v7
.LBB10_182:                             ;   Parent Loop BB10_163 Depth=1
                                        ;     Parent Loop BB10_177 Depth=2
                                        ;       Parent Loop BB10_180 Depth=3
                                        ; =>      This Inner Loop Header: Depth=4
	ds_read_b64 v[22:23], v19
	ds_read_b64 v[24:25], v18
	ds_read_b64 v[26:27], v20
	v_add_u32_e32 v21, 4, v21
	v_cmp_le_i32_e64 s[12:13], s15, v21
	s_or_b64 s[38:39], s[12:13], s[38:39]
	v_add_u32_e32 v19, 32, v19
	s_waitcnt lgkmcnt(0)
	v_fma_f64 v[22:23], -v[22:23], v[24:25], v[26:27]
	ds_write_b64 v20, v[22:23]
	v_add_u32_e32 v20, 32, v20
	s_andn2_b64 exec, exec, s[38:39]
	s_cbranch_execnz .LBB10_182
	s_branch .LBB10_179
.LBB10_183:                             ;   in Loop: Header=BB10_177 Depth=2
	s_or_b64 exec, exec, s[22:23]
	v_add3_u32 v7, v8, s40, 1
	v_cmp_gt_i32_e32 vcc, s15, v7
	s_mov_b64 s[22:23], 0
	v_mov_b32_e32 v16, v2
	v_mov_b32_e32 v17, v1
	s_branch .LBB10_185
.LBB10_184:                             ;   in Loop: Header=BB10_185 Depth=3
	s_or_b64 exec, exec, s[24:25]
	v_add_u32_e32 v17, 16, v17
	v_cmp_le_i32_e64 s[12:13], s15, v17
	s_or_b64 s[22:23], s[12:13], s[22:23]
	v_add_u32_e32 v16, 0x880, v16
	s_andn2_b64 exec, exec, s[22:23]
	s_cbranch_execz .LBB10_176
.LBB10_185:                             ;   Parent Loop BB10_163 Depth=1
                                        ;     Parent Loop BB10_177 Depth=2
                                        ; =>    This Loop Header: Depth=3
                                        ;         Child Loop BB10_187 Depth 4
	s_and_saveexec_b64 s[24:25], vcc
	s_cbranch_execz .LBB10_184
; %bb.186:                              ;   in Loop: Header=BB10_185 Depth=3
	v_mul_lo_u32 v18, v17, s45
	v_add_u32_e32 v18, s41, v18
	s_mov_b64 s[38:39], 0
	v_mov_b32_e32 v19, v16
	v_mov_b32_e32 v20, v4
	v_mov_b32_e32 v21, v7
.LBB10_187:                             ;   Parent Loop BB10_163 Depth=1
                                        ;     Parent Loop BB10_177 Depth=2
                                        ;       Parent Loop BB10_185 Depth=3
                                        ; =>      This Inner Loop Header: Depth=4
	ds_read_b64 v[22:23], v20
	ds_read_b64 v[24:25], v18 offset:8
	ds_read_b64 v[26:27], v19
	v_add_u32_e32 v21, 4, v21
	v_cmp_le_i32_e64 s[12:13], s15, v21
	v_add_u32_e32 v20, 32, v20
	s_or_b64 s[38:39], s[12:13], s[38:39]
	s_waitcnt lgkmcnt(0)
	v_fma_f64 v[22:23], -v[22:23], v[24:25], v[26:27]
	ds_write_b64 v19, v[22:23]
	v_add_u32_e32 v19, 32, v19
	s_andn2_b64 exec, exec, s[38:39]
	s_cbranch_execnz .LBB10_187
	s_branch .LBB10_184
.LBB10_188:                             ;   in Loop: Header=BB10_163 Depth=1
	s_and_b64 vcc, exec, s[10:11]
	s_mov_b64 s[12:13], -1
	s_cbranch_vccnz .LBB10_198
; %bb.189:                              ;   in Loop: Header=BB10_163 Depth=1
	s_and_saveexec_b64 s[12:13], s[2:3]
	s_xor_b64 s[12:13], exec, s[12:13]
	s_cbranch_execz .LBB10_191
; %bb.190:                              ;   in Loop: Header=BB10_163 Depth=1
	s_waitcnt lgkmcnt(0)
.LBB10_191:                             ;   in Loop: Header=BB10_163 Depth=1
	s_or_saveexec_b64 s[18:19], s[12:13]
	s_mov_b64 s[12:13], 0
	s_xor_b64 exec, exec, s[18:19]
	s_cbranch_execz .LBB10_200
; %bb.192:                              ;   in Loop: Header=BB10_163 Depth=1
	v_add_u32_e32 v2, s24, v8
	v_add_u32_e32 v4, s24, v3
	s_mul_i32 s12, s24, 0x90
	s_lshl_b32 s40, s24, 3
	v_cmp_gt_i32_e32 vcc, s15, v2
	v_lshl_add_u32 v4, v4, 3, v15
	v_add_u32_e32 v5, s12, v12
	s_mov_b64 s[22:23], 0
	s_addk_i32 s40, 0x880
	v_mov_b32_e32 v6, v1
	s_branch .LBB10_194
.LBB10_193:                             ;   in Loop: Header=BB10_194 Depth=2
	s_or_b64 exec, exec, s[24:25]
	v_add_u32_e32 v6, 16, v6
	v_cmp_le_i32_e64 s[12:13], s15, v6
	s_or_b64 s[22:23], s[12:13], s[22:23]
	v_add_u32_e32 v4, 0x880, v4
	s_andn2_b64 exec, exec, s[22:23]
	s_cbranch_execz .LBB10_199
.LBB10_194:                             ;   Parent Loop BB10_163 Depth=1
                                        ; =>  This Loop Header: Depth=2
                                        ;       Child Loop BB10_196 Depth 3
	s_and_saveexec_b64 s[24:25], vcc
	s_cbranch_execz .LBB10_193
; %bb.195:                              ;   in Loop: Header=BB10_194 Depth=2
	v_mul_lo_u32 v7, v6, s45
	v_add_u32_e32 v7, s40, v7
	s_mov_b64 s[38:39], 0
	v_mov_b32_e32 v16, v5
	v_mov_b32_e32 v17, v4
	;; [unrolled: 1-line block ×3, first 2 shown]
.LBB10_196:                             ;   Parent Loop BB10_163 Depth=1
                                        ;     Parent Loop BB10_194 Depth=2
                                        ; =>    This Inner Loop Header: Depth=3
	ds_read_b64 v[20:21], v16
	ds_read_b64 v[22:23], v7
	;; [unrolled: 1-line block ×3, first 2 shown]
	v_add_u32_e32 v18, 4, v18
	v_cmp_le_i32_e64 s[12:13], s15, v18
	s_or_b64 s[38:39], s[12:13], s[38:39]
	v_add_u32_e32 v16, 32, v16
	s_waitcnt lgkmcnt(0)
	v_fma_f64 v[20:21], -v[20:21], v[22:23], v[24:25]
	ds_write_b64 v17, v[20:21]
	v_add_u32_e32 v17, 32, v17
	s_andn2_b64 exec, exec, s[38:39]
	s_cbranch_execnz .LBB10_196
	s_branch .LBB10_193
.LBB10_197:                             ;   in Loop: Header=BB10_163 Depth=1
	s_mov_b64 s[12:13], -1
.LBB10_198:                             ;   in Loop: Header=BB10_163 Depth=1
	s_and_saveexec_b64 s[18:19], s[12:13]
	s_xor_b64 s[12:13], exec, s[18:19]
	s_cbranch_execz .LBB10_162
	s_branch .LBB10_201
.LBB10_199:                             ;   in Loop: Header=BB10_163 Depth=1
	s_or_b64 exec, exec, s[22:23]
	s_mov_b64 s[12:13], exec
.LBB10_200:                             ;   in Loop: Header=BB10_163 Depth=1
	s_or_b64 exec, exec, s[18:19]
	s_and_saveexec_b64 s[18:19], s[12:13]
	s_xor_b64 s[12:13], exec, s[18:19]
	s_cbranch_execz .LBB10_162
.LBB10_201:                             ;   in Loop: Header=BB10_163 Depth=1
	s_waitcnt lgkmcnt(0)
	s_and_saveexec_b64 s[18:19], s[0:1]
	s_cbranch_execz .LBB10_161
; %bb.202:                              ;   in Loop: Header=BB10_163 Depth=1
	s_mul_i32 s46, s33, s15
	s_mov_b64 s[22:23], 0
	v_mov_b32_e32 v16, v10
	v_mov_b32_e32 v17, v9
	;; [unrolled: 1-line block ×3, first 2 shown]
	s_branch .LBB10_204
.LBB10_203:                             ;   in Loop: Header=BB10_204 Depth=2
	s_or_b64 exec, exec, s[24:25]
	v_add_u32_e32 v2, 16, v2
	v_cmp_le_i32_e32 vcc, s15, v2
	v_add_u32_e32 v17, s44, v17
	s_or_b64 s[22:23], vcc, s[22:23]
	v_add_u32_e32 v16, 0x80, v16
	s_andn2_b64 exec, exec, s[22:23]
	s_cbranch_execz .LBB10_161
.LBB10_204:                             ;   Parent Loop BB10_163 Depth=1
                                        ; =>  This Loop Header: Depth=2
                                        ;       Child Loop BB10_207 Depth 3
	s_and_saveexec_b64 s[24:25], s[4:5]
	s_cbranch_execz .LBB10_203
; %bb.205:                              ;   in Loop: Header=BB10_204 Depth=2
	s_mov_b64 s[38:39], 0
	v_mov_b32_e32 v18, v16
	v_mov_b32_e32 v19, v3
	s_branch .LBB10_207
.LBB10_206:                             ;   in Loop: Header=BB10_207 Depth=3
	v_add_u32_e32 v19, 4, v19
	v_ashrrev_i32_e32 v7, 31, v6
	v_cmp_le_i32_e32 vcc, s15, v19
	v_lshl_add_u64 v[6:7], v[6:7], 3, s[20:21]
	s_or_b64 s[38:39], vcc, s[38:39]
	v_add_u32_e32 v18, 0x220, v18
	s_waitcnt lgkmcnt(0)
	global_store_dwordx2 v[6:7], v[4:5], off
	s_andn2_b64 exec, exec, s[38:39]
	s_cbranch_execz .LBB10_203
.LBB10_207:                             ;   Parent Loop BB10_163 Depth=1
                                        ;     Parent Loop BB10_204 Depth=2
                                        ; =>    This Inner Loop Header: Depth=3
	ds_read_b64 v[4:5], v18
	s_and_b64 vcc, exec, s[16:17]
	s_cbranch_vccz .LBB10_209
; %bb.208:                              ;   in Loop: Header=BB10_207 Depth=3
	v_add_u32_e32 v6, s46, v19
	v_mad_u64_u32 v[6:7], s[40:41], v6, s15, v[2:3]
	s_cbranch_execnz .LBB10_206
	s_branch .LBB10_210
.LBB10_209:                             ;   in Loop: Header=BB10_207 Depth=3
                                        ; implicit-def: $vgpr6
.LBB10_210:                             ;   in Loop: Header=BB10_207 Depth=3
	v_add_u32_e32 v6, v17, v19
	s_branch .LBB10_206
.LBB10_211:
	v_and_b32_e32 v0, 0xfffff, v0
	v_cmp_eq_u32_e32 vcc, 0, v0
	s_and_saveexec_b64 s[0:1], vcc
	s_cbranch_execz .LBB10_215
; %bb.212:
	s_add_u32 s0, s28, s34
	s_addc_u32 s1, s29, s35
	v_mov_b32_e32 v0, 0
	v_mov_b32_e32 v1, 1
	s_andn2_b64 vcc, exec, s[36:37]
	buffer_wbl2 sc1
	s_waitcnt vmcnt(0) lgkmcnt(0)
	global_store_dword v0, v1, s[0:1] sc1
	s_cbranch_vccnz .LBB10_215
; %bb.213:
	v_mbcnt_lo_u32_b32 v0, exec_lo, 0
	v_mbcnt_hi_u32_b32 v0, exec_hi, v0
	v_cmp_eq_u32_e32 vcc, 0, v0
	s_and_b64 exec, exec, vcc
	s_cbranch_execz .LBB10_215
; %bb.214:
	s_add_i32 s0, s30, s14
	v_mov_b32_e32 v0, 0
	v_mov_b32_e32 v1, s0
	global_atomic_smin v0, v1, s[26:27]
.LBB10_215:
	s_endpgm
	.section	.rodata,"a",@progbits
	.p2align	6, 0x0
	.amdhsa_kernel _ZN9rocsparseL12bsrilu0_9_32ILj64ELj64ELj16EdEEv20rocsparse_direction_iPKiS3_PT2_S3_iPiS3_S6_21rocsparse_index_base_imNS_24const_host_device_scalarIfEENS8_IdEENS8_IS4_EEb
		.amdhsa_group_segment_fixed_size 4352
		.amdhsa_private_segment_fixed_size 0
		.amdhsa_kernarg_size 116
		.amdhsa_user_sgpr_count 2
		.amdhsa_user_sgpr_dispatch_ptr 0
		.amdhsa_user_sgpr_queue_ptr 0
		.amdhsa_user_sgpr_kernarg_segment_ptr 1
		.amdhsa_user_sgpr_dispatch_id 0
		.amdhsa_user_sgpr_kernarg_preload_length 0
		.amdhsa_user_sgpr_kernarg_preload_offset 0
		.amdhsa_user_sgpr_private_segment_size 0
		.amdhsa_uses_dynamic_stack 0
		.amdhsa_enable_private_segment 0
		.amdhsa_system_sgpr_workgroup_id_x 1
		.amdhsa_system_sgpr_workgroup_id_y 0
		.amdhsa_system_sgpr_workgroup_id_z 0
		.amdhsa_system_sgpr_workgroup_info 0
		.amdhsa_system_vgpr_workitem_id 1
		.amdhsa_next_free_vgpr 44
		.amdhsa_next_free_sgpr 68
		.amdhsa_accum_offset 44
		.amdhsa_reserve_vcc 1
		.amdhsa_float_round_mode_32 0
		.amdhsa_float_round_mode_16_64 0
		.amdhsa_float_denorm_mode_32 3
		.amdhsa_float_denorm_mode_16_64 3
		.amdhsa_dx10_clamp 1
		.amdhsa_ieee_mode 1
		.amdhsa_fp16_overflow 0
		.amdhsa_tg_split 0
		.amdhsa_exception_fp_ieee_invalid_op 0
		.amdhsa_exception_fp_denorm_src 0
		.amdhsa_exception_fp_ieee_div_zero 0
		.amdhsa_exception_fp_ieee_overflow 0
		.amdhsa_exception_fp_ieee_underflow 0
		.amdhsa_exception_fp_ieee_inexact 0
		.amdhsa_exception_int_div_zero 0
	.end_amdhsa_kernel
	.section	.text._ZN9rocsparseL12bsrilu0_9_32ILj64ELj64ELj16EdEEv20rocsparse_direction_iPKiS3_PT2_S3_iPiS3_S6_21rocsparse_index_base_imNS_24const_host_device_scalarIfEENS8_IdEENS8_IS4_EEb,"axG",@progbits,_ZN9rocsparseL12bsrilu0_9_32ILj64ELj64ELj16EdEEv20rocsparse_direction_iPKiS3_PT2_S3_iPiS3_S6_21rocsparse_index_base_imNS_24const_host_device_scalarIfEENS8_IdEENS8_IS4_EEb,comdat
.Lfunc_end10:
	.size	_ZN9rocsparseL12bsrilu0_9_32ILj64ELj64ELj16EdEEv20rocsparse_direction_iPKiS3_PT2_S3_iPiS3_S6_21rocsparse_index_base_imNS_24const_host_device_scalarIfEENS8_IdEENS8_IS4_EEb, .Lfunc_end10-_ZN9rocsparseL12bsrilu0_9_32ILj64ELj64ELj16EdEEv20rocsparse_direction_iPKiS3_PT2_S3_iPiS3_S6_21rocsparse_index_base_imNS_24const_host_device_scalarIfEENS8_IdEENS8_IS4_EEb
                                        ; -- End function
	.set _ZN9rocsparseL12bsrilu0_9_32ILj64ELj64ELj16EdEEv20rocsparse_direction_iPKiS3_PT2_S3_iPiS3_S6_21rocsparse_index_base_imNS_24const_host_device_scalarIfEENS8_IdEENS8_IS4_EEb.num_vgpr, 44
	.set _ZN9rocsparseL12bsrilu0_9_32ILj64ELj64ELj16EdEEv20rocsparse_direction_iPKiS3_PT2_S3_iPiS3_S6_21rocsparse_index_base_imNS_24const_host_device_scalarIfEENS8_IdEENS8_IS4_EEb.num_agpr, 0
	.set _ZN9rocsparseL12bsrilu0_9_32ILj64ELj64ELj16EdEEv20rocsparse_direction_iPKiS3_PT2_S3_iPiS3_S6_21rocsparse_index_base_imNS_24const_host_device_scalarIfEENS8_IdEENS8_IS4_EEb.numbered_sgpr, 68
	.set _ZN9rocsparseL12bsrilu0_9_32ILj64ELj64ELj16EdEEv20rocsparse_direction_iPKiS3_PT2_S3_iPiS3_S6_21rocsparse_index_base_imNS_24const_host_device_scalarIfEENS8_IdEENS8_IS4_EEb.num_named_barrier, 0
	.set _ZN9rocsparseL12bsrilu0_9_32ILj64ELj64ELj16EdEEv20rocsparse_direction_iPKiS3_PT2_S3_iPiS3_S6_21rocsparse_index_base_imNS_24const_host_device_scalarIfEENS8_IdEENS8_IS4_EEb.private_seg_size, 0
	.set _ZN9rocsparseL12bsrilu0_9_32ILj64ELj64ELj16EdEEv20rocsparse_direction_iPKiS3_PT2_S3_iPiS3_S6_21rocsparse_index_base_imNS_24const_host_device_scalarIfEENS8_IdEENS8_IS4_EEb.uses_vcc, 1
	.set _ZN9rocsparseL12bsrilu0_9_32ILj64ELj64ELj16EdEEv20rocsparse_direction_iPKiS3_PT2_S3_iPiS3_S6_21rocsparse_index_base_imNS_24const_host_device_scalarIfEENS8_IdEENS8_IS4_EEb.uses_flat_scratch, 0
	.set _ZN9rocsparseL12bsrilu0_9_32ILj64ELj64ELj16EdEEv20rocsparse_direction_iPKiS3_PT2_S3_iPiS3_S6_21rocsparse_index_base_imNS_24const_host_device_scalarIfEENS8_IdEENS8_IS4_EEb.has_dyn_sized_stack, 0
	.set _ZN9rocsparseL12bsrilu0_9_32ILj64ELj64ELj16EdEEv20rocsparse_direction_iPKiS3_PT2_S3_iPiS3_S6_21rocsparse_index_base_imNS_24const_host_device_scalarIfEENS8_IdEENS8_IS4_EEb.has_recursion, 0
	.set _ZN9rocsparseL12bsrilu0_9_32ILj64ELj64ELj16EdEEv20rocsparse_direction_iPKiS3_PT2_S3_iPiS3_S6_21rocsparse_index_base_imNS_24const_host_device_scalarIfEENS8_IdEENS8_IS4_EEb.has_indirect_call, 0
	.section	.AMDGPU.csdata,"",@progbits
; Kernel info:
; codeLenInByte = 5912
; TotalNumSgprs: 74
; NumVgprs: 44
; NumAgprs: 0
; TotalNumVgprs: 44
; ScratchSize: 0
; MemoryBound: 0
; FloatMode: 240
; IeeeMode: 1
; LDSByteSize: 4352 bytes/workgroup (compile time only)
; SGPRBlocks: 9
; VGPRBlocks: 5
; NumSGPRsForWavesPerEU: 74
; NumVGPRsForWavesPerEU: 44
; AccumOffset: 44
; Occupancy: 8
; WaveLimiterHint : 1
; COMPUTE_PGM_RSRC2:SCRATCH_EN: 0
; COMPUTE_PGM_RSRC2:USER_SGPR: 2
; COMPUTE_PGM_RSRC2:TRAP_HANDLER: 0
; COMPUTE_PGM_RSRC2:TGID_X_EN: 1
; COMPUTE_PGM_RSRC2:TGID_Y_EN: 0
; COMPUTE_PGM_RSRC2:TGID_Z_EN: 0
; COMPUTE_PGM_RSRC2:TIDIG_COMP_CNT: 1
; COMPUTE_PGM_RSRC3_GFX90A:ACCUM_OFFSET: 10
; COMPUTE_PGM_RSRC3_GFX90A:TG_SPLIT: 0
	.section	.text._ZN9rocsparseL12bsrilu0_9_32ILj64ELj64ELj32EdEEv20rocsparse_direction_iPKiS3_PT2_S3_iPiS3_S6_21rocsparse_index_base_imNS_24const_host_device_scalarIfEENS8_IdEENS8_IS4_EEb,"axG",@progbits,_ZN9rocsparseL12bsrilu0_9_32ILj64ELj64ELj32EdEEv20rocsparse_direction_iPKiS3_PT2_S3_iPiS3_S6_21rocsparse_index_base_imNS_24const_host_device_scalarIfEENS8_IdEENS8_IS4_EEb,comdat
	.globl	_ZN9rocsparseL12bsrilu0_9_32ILj64ELj64ELj32EdEEv20rocsparse_direction_iPKiS3_PT2_S3_iPiS3_S6_21rocsparse_index_base_imNS_24const_host_device_scalarIfEENS8_IdEENS8_IS4_EEb ; -- Begin function _ZN9rocsparseL12bsrilu0_9_32ILj64ELj64ELj32EdEEv20rocsparse_direction_iPKiS3_PT2_S3_iPiS3_S6_21rocsparse_index_base_imNS_24const_host_device_scalarIfEENS8_IdEENS8_IS4_EEb
	.p2align	8
	.type	_ZN9rocsparseL12bsrilu0_9_32ILj64ELj64ELj32EdEEv20rocsparse_direction_iPKiS3_PT2_S3_iPiS3_S6_21rocsparse_index_base_imNS_24const_host_device_scalarIfEENS8_IdEENS8_IS4_EEb,@function
_ZN9rocsparseL12bsrilu0_9_32ILj64ELj64ELj32EdEEv20rocsparse_direction_iPKiS3_PT2_S3_iPiS3_S6_21rocsparse_index_base_imNS_24const_host_device_scalarIfEENS8_IdEENS8_IS4_EEb: ; @_ZN9rocsparseL12bsrilu0_9_32ILj64ELj64ELj32EdEEv20rocsparse_direction_iPKiS3_PT2_S3_iPiS3_S6_21rocsparse_index_base_imNS_24const_host_device_scalarIfEENS8_IdEENS8_IS4_EEb
; %bb.0:
	s_load_dword s3, s[0:1], 0x70
	s_load_dwordx2 s[14:15], s[0:1], 0x48
	s_load_dwordx8 s[24:31], s[0:1], 0x50
	s_waitcnt lgkmcnt(0)
	s_bitcmp1_b32 s3, 0
	s_cselect_b64 s[4:5], -1, 0
	s_cmp_eq_u32 s15, 0
	s_cselect_b64 s[6:7], -1, 0
	s_cmp_lg_u32 s15, 0
	s_cselect_b64 s[42:43], -1, 0
	s_or_b64 s[4:5], s[6:7], s[4:5]
	s_xor_b64 s[8:9], s[4:5], -1
	s_and_b64 s[10:11], s[6:7], exec
	s_cselect_b32 s11, 0, s29
	s_cselect_b32 s10, 0, s28
	s_and_b64 vcc, exec, s[4:5]
	s_cbranch_vccnz .LBB11_2
; %bb.1:
	s_load_dword s3, s[26:27], 0x0
	s_mov_b64 s[10:11], s[28:29]
	s_waitcnt lgkmcnt(0)
	v_mov_b32_e32 v1, s3
	s_branch .LBB11_3
.LBB11_2:
	v_mov_b32_e32 v1, s26
	v_cndmask_b32_e64 v1, v1, 0, s[6:7]
.LBB11_3:
	v_cndmask_b32_e64 v2, 0, 1, s[8:9]
	v_cmp_ne_u32_e64 s[4:5], 1, v2
	s_andn2_b64 vcc, exec, s[8:9]
	v_mov_b64_e32 v[4:5], s[10:11]
	s_cbranch_vccnz .LBB11_5
; %bb.4:
	v_mov_b64_e32 v[2:3], s[28:29]
	flat_load_dwordx2 v[4:5], v[2:3]
.LBB11_5:
	s_and_b64 s[6:7], s[6:7], exec
	s_cselect_b32 s7, 0, s31
	s_cselect_b32 s6, 0, s30
	s_mov_b32 s3, 0
	s_and_b64 vcc, exec, s[4:5]
	v_mov_b64_e32 v[2:3], s[6:7]
	s_cbranch_vccnz .LBB11_7
; %bb.6:
	v_mov_b64_e32 v[2:3], s[30:31]
	flat_load_dwordx2 v[2:3], v[2:3]
.LBB11_7:
	s_load_dwordx4 s[28:31], s[0:1], 0x30
	s_load_dwordx2 s[26:27], s[0:1], 0x40
	s_lshl_b64 s[2:3], s[2:3], 2
	s_waitcnt lgkmcnt(0)
	s_add_u32 s2, s30, s2
	s_addc_u32 s3, s31, s3
	s_load_dword s30, s[2:3], 0x0
	s_load_dwordx8 s[16:23], s[0:1], 0x8
	s_waitcnt lgkmcnt(0)
	s_ashr_i32 s31, s30, 31
	s_lshl_b64 s[34:35], s[30:31], 2
	s_add_u32 s2, s22, s34
	s_addc_u32 s3, s23, s35
	s_load_dword s38, s[2:3], 0x0
	s_waitcnt lgkmcnt(0)
	s_cmp_eq_u32 s38, -1
	s_cbranch_scc1 .LBB11_125
; %bb.8:
	s_add_u32 s2, s16, s34
	s_addc_u32 s3, s17, s35
	s_load_dwordx2 s[4:5], s[2:3], 0x0
	s_load_dwordx2 s[40:41], s[0:1], 0x0
	s_load_dword s15, s[0:1], 0x28
	s_mov_b64 s[36:37], 0
	s_waitcnt lgkmcnt(0)
	s_sub_i32 s44, s4, s14
	s_sub_i32 s31, s5, s14
	s_cmp_ge_i32 s44, s38
	s_cbranch_scc1 .LBB11_114
; %bb.9:
	s_cmp_lg_u32 s40, 0
	v_bfe_u32 v18, v0, 10, 10
	s_cselect_b64 s[46:47], -1, 0
	s_cmp_gt_i32 s15, 0
	v_and_b32_e32 v11, 0x3ff, v0
	s_cselect_b64 s[48:49], -1, 0
	v_lshlrev_b32_e32 v6, 5, v18
	s_add_i32 s33, s41, 1
	v_add3_u32 v6, v6, v11, s44
	s_cmp_lg_u32 s15, 1
	v_ashrrev_i32_e32 v7, 31, v6
	s_cselect_b64 s[50:51], -1, 0
	s_and_b32 s39, s15, 0x7ffffffe
	s_mul_i32 s10, s15, s44
	s_movk_i32 s65, 0x108
	v_lshlrev_b32_e32 v12, 3, v11
	v_mov_b32_e32 v10, 0x218
	v_lshl_add_u64 v[8:9], v[6:7], 2, s[18:19]
	s_bitcmp1_b32 s15, 0
	v_add_u32_e32 v7, s10, v11
	v_mad_u32_u24 v21, v18, s65, v12
	v_mad_u32_u24 v25, v18, s65, v10
	v_add_u32_e32 v10, 0x2208, v12
	v_add_u32_e32 v27, 0x2100, v12
	v_mbcnt_lo_u32_b32 v12, -1, 0
	v_cmp_gt_i32_e64 s[0:1], s15, v11
	v_cmp_le_i32_e64 s[2:3], s15, v11
	v_cmp_gt_i32_e64 s[4:5], s15, v18
	v_cmp_eq_u32_e64 s[6:7], 0, v18
	v_add_u32_e32 v19, 1, v18
	v_cmp_gt_i32_e64 s[8:9], s31, v6
	s_cselect_b64 s[52:53], -1, 0
	v_mul_lo_u32 v7, s15, v7
	s_mul_i32 s41, s15, s15
	s_lshl_b32 s64, s15, 5
	v_mul_u32_u24_e32 v20, 0x108, v18
	v_add_u32_e32 v22, 0x2100, v21
	v_add_u32_e32 v23, 0x2208, v21
	v_mad_u32_u24 v24, v18, s65, s65
	v_add_u32_e32 v26, 0x2310, v21
	v_mov_b32_e32 v28, 0
	v_mbcnt_hi_u32_b32 v29, -1, v12
	s_branch .LBB11_12
.LBB11_10:                              ;   in Loop: Header=BB11_12 Depth=1
	s_mov_b64 s[36:37], -1
.LBB11_11:                              ;   in Loop: Header=BB11_12 Depth=1
	s_add_i32 s44, s44, 1
	s_cmp_lt_i32 s44, s38
	s_cselect_b64 s[12:13], -1, 0
	s_and_b64 s[10:11], s[10:11], s[12:13]
	v_add_u32_e32 v7, s41, v7
	s_and_b64 vcc, exec, s[10:11]
	s_cbranch_vccz .LBB11_114
.LBB11_12:                              ; =>This Loop Header: Depth=1
                                        ;     Child Loop BB11_15 Depth 2
                                        ;       Child Loop BB11_18 Depth 3
                                        ;     Child Loop BB11_24 Depth 2
                                        ;     Child Loop BB11_28 Depth 2
                                        ;       Child Loop BB11_31 Depth 3
                                        ;     Child Loop BB11_40 Depth 2
                                        ;       Child Loop BB11_45 Depth 3
                                        ;         Child Loop BB11_49 Depth 4
                                        ;       Child Loop BB11_52 Depth 3
                                        ;         Child Loop BB11_56 Depth 4
                                        ;     Child Loop BB11_61 Depth 2
                                        ;       Child Loop BB11_65 Depth 3
                                        ;     Child Loop BB11_70 Depth 2
                                        ;       Child Loop BB11_73 Depth 3
	;; [unrolled: 2-line block ×3, first 2 shown]
                                        ;       Child Loop BB11_96 Depth 3
                                        ;         Child Loop BB11_99 Depth 4
                                        ;       Child Loop BB11_105 Depth 3
                                        ;         Child Loop BB11_108 Depth 4
                                        ;           Child Loop BB11_109 Depth 5
	s_ashr_i32 s45, s44, 31
	s_lshl_b64 s[10:11], s[44:45], 2
	s_add_u32 s10, s18, s10
	s_addc_u32 s11, s19, s11
	global_load_dword v12, v28, s[10:11]
	s_waitcnt vmcnt(0)
	v_readfirstlane_b32 s45, v12
	s_and_saveexec_b64 s[10:11], s[0:1]
	s_cbranch_execz .LBB11_22
; %bb.13:                               ;   in Loop: Header=BB11_12 Depth=1
	s_mul_i32 s60, s44, s15
	s_mov_b64 s[12:13], 0
	v_mov_b32_e32 v13, v22
	v_mov_b32_e32 v16, v7
	;; [unrolled: 1-line block ×3, first 2 shown]
	s_branch .LBB11_15
.LBB11_14:                              ;   in Loop: Header=BB11_15 Depth=2
	s_or_b64 exec, exec, s[54:55]
	v_add_u32_e32 v12, 32, v12
	v_cmp_le_i32_e32 vcc, s15, v12
	v_add_u32_e32 v16, s64, v16
	s_or_b64 s[12:13], vcc, s[12:13]
	v_add_u32_e32 v13, 0x100, v13
	s_andn2_b64 exec, exec, s[12:13]
	s_cbranch_execz .LBB11_22
.LBB11_15:                              ;   Parent Loop BB11_12 Depth=1
                                        ; =>  This Loop Header: Depth=2
                                        ;       Child Loop BB11_18 Depth 3
	s_and_saveexec_b64 s[54:55], s[4:5]
	s_cbranch_execz .LBB11_14
; %bb.16:                               ;   in Loop: Header=BB11_15 Depth=2
	s_mov_b64 s[56:57], 0
	v_mov_b32_e32 v17, v13
	v_mov_b32_e32 v30, v18
	s_branch .LBB11_18
.LBB11_17:                              ;   in Loop: Header=BB11_18 Depth=3
	v_ashrrev_i32_e32 v15, 31, v14
	v_lshl_add_u64 v[14:15], v[14:15], 3, s[20:21]
	global_load_dwordx2 v[14:15], v[14:15], off
	v_add_u32_e32 v30, 2, v30
	v_cmp_le_i32_e32 vcc, s15, v30
	s_or_b64 s[56:57], vcc, s[56:57]
	s_waitcnt vmcnt(0)
	ds_write_b64 v17, v[14:15]
	v_add_u32_e32 v17, 0x210, v17
	s_andn2_b64 exec, exec, s[56:57]
	s_cbranch_execz .LBB11_14
.LBB11_18:                              ;   Parent Loop BB11_12 Depth=1
                                        ;     Parent Loop BB11_15 Depth=2
                                        ; =>    This Inner Loop Header: Depth=3
	s_and_b64 vcc, exec, s[46:47]
	s_cbranch_vccz .LBB11_20
; %bb.19:                               ;   in Loop: Header=BB11_18 Depth=3
	v_add_u32_e32 v14, s60, v30
	v_mad_u64_u32 v[14:15], s[58:59], v14, s15, v[12:13]
	s_cbranch_execnz .LBB11_17
	s_branch .LBB11_21
.LBB11_20:                              ;   in Loop: Header=BB11_18 Depth=3
                                        ; implicit-def: $vgpr14
.LBB11_21:                              ;   in Loop: Header=BB11_18 Depth=3
	v_add_u32_e32 v14, v16, v30
	s_branch .LBB11_17
.LBB11_22:                              ;   in Loop: Header=BB11_12 Depth=1
	s_or_b64 exec, exec, s[10:11]
	s_sub_i32 s10, s45, s14
	s_ashr_i32 s11, s10, 31
	s_lshl_b64 s[12:13], s[10:11], 2
	s_add_u32 s10, s22, s12
	s_addc_u32 s11, s23, s13
	global_load_dword v12, v28, s[10:11]
	s_waitcnt vmcnt(0)
	v_cmp_eq_u32_e32 vcc, -1, v12
	v_readfirstlane_b32 s45, v12
	v_cmp_ne_u32_e64 s[10:11], -1, v12
	s_cbranch_vccnz .LBB11_10
; %bb.23:                               ;   in Loop: Header=BB11_12 Depth=1
	s_add_u32 s54, s16, s12
	s_addc_u32 s55, s17, s13
	global_load_dword v12, v28, s[54:55] offset:4
	s_add_u32 s12, s28, s12
	s_addc_u32 s13, s29, s13
	s_waitcnt vmcnt(0)
	v_readfirstlane_b32 s62, v12
.LBB11_24:                              ;   Parent Loop BB11_12 Depth=1
                                        ; =>  This Inner Loop Header: Depth=2
	global_load_dword v12, v28, s[12:13] sc1
	s_waitcnt vmcnt(0)
	v_cmp_eq_u32_e32 vcc, 0, v12
	s_cbranch_vccnz .LBB11_24
; %bb.25:                               ;   in Loop: Header=BB11_12 Depth=1
	s_waitcnt lgkmcnt(0)
	buffer_inv sc1
	s_and_saveexec_b64 s[12:13], s[0:1]
	s_cbranch_execz .LBB11_35
; %bb.26:                               ;   in Loop: Header=BB11_12 Depth=1
	s_mul_i32 s63, s45, s15
	v_add_u32_e32 v12, s63, v11
	v_mul_lo_u32 v13, s15, v12
	s_mov_b64 s[54:55], 0
	v_mov_b32_e32 v16, v21
	v_mov_b32_e32 v12, v11
	s_branch .LBB11_28
.LBB11_27:                              ;   in Loop: Header=BB11_28 Depth=2
	s_or_b64 exec, exec, s[56:57]
	v_add_u32_e32 v12, 32, v12
	v_cmp_le_i32_e32 vcc, s15, v12
	v_add_u32_e32 v13, s64, v13
	s_or_b64 s[54:55], vcc, s[54:55]
	v_add_u32_e32 v16, 0x100, v16
	s_andn2_b64 exec, exec, s[54:55]
	s_cbranch_execz .LBB11_35
.LBB11_28:                              ;   Parent Loop BB11_12 Depth=1
                                        ; =>  This Loop Header: Depth=2
                                        ;       Child Loop BB11_31 Depth 3
	s_and_saveexec_b64 s[56:57], s[4:5]
	s_cbranch_execz .LBB11_27
; %bb.29:                               ;   in Loop: Header=BB11_28 Depth=2
	s_mov_b64 s[58:59], 0
	v_mov_b32_e32 v17, v16
	v_mov_b32_e32 v30, v18
	s_branch .LBB11_31
.LBB11_30:                              ;   in Loop: Header=BB11_31 Depth=3
	v_ashrrev_i32_e32 v15, 31, v14
	v_lshl_add_u64 v[14:15], v[14:15], 3, s[20:21]
	global_load_dwordx2 v[14:15], v[14:15], off
	v_add_u32_e32 v30, 2, v30
	v_cmp_le_i32_e32 vcc, s15, v30
	s_or_b64 s[58:59], vcc, s[58:59]
	s_waitcnt vmcnt(0)
	ds_write_b64 v17, v[14:15]
	v_add_u32_e32 v17, 0x210, v17
	s_andn2_b64 exec, exec, s[58:59]
	s_cbranch_execz .LBB11_27
.LBB11_31:                              ;   Parent Loop BB11_12 Depth=1
                                        ;     Parent Loop BB11_28 Depth=2
                                        ; =>    This Inner Loop Header: Depth=3
	s_and_b64 vcc, exec, s[46:47]
	s_cbranch_vccz .LBB11_33
; %bb.32:                               ;   in Loop: Header=BB11_31 Depth=3
	v_add_u32_e32 v14, s63, v30
	v_mad_u64_u32 v[14:15], s[60:61], v14, s15, v[12:13]
	s_cbranch_execnz .LBB11_30
	s_branch .LBB11_34
.LBB11_33:                              ;   in Loop: Header=BB11_31 Depth=3
                                        ; implicit-def: $vgpr14
.LBB11_34:                              ;   in Loop: Header=BB11_31 Depth=3
	v_add_u32_e32 v14, v13, v30
	s_branch .LBB11_30
.LBB11_35:                              ;   in Loop: Header=BB11_12 Depth=1
	s_or_b64 exec, exec, s[12:13]
	s_andn2_b64 vcc, exec, s[48:49]
	s_waitcnt lgkmcnt(0)
	s_cbranch_vccnz .LBB11_67
; %bb.36:                               ;   in Loop: Header=BB11_12 Depth=1
	s_andn2_b64 vcc, exec, s[50:51]
	s_mov_b32 s56, 0
	s_cbranch_vccnz .LBB11_57
; %bb.37:                               ;   in Loop: Header=BB11_12 Depth=1
	s_mov_b32 s63, 0
	v_mov_b32_e32 v16, v26
	v_mov_b32_e32 v17, v25
	;; [unrolled: 1-line block ×4, first 2 shown]
	s_branch .LBB11_40
.LBB11_38:                              ;   in Loop: Header=BB11_40 Depth=2
	s_or_b64 exec, exec, s[56:57]
.LBB11_39:                              ;   in Loop: Header=BB11_40 Depth=2
	s_or_b64 exec, exec, s[54:55]
	s_add_i32 s63, s63, 2
	v_add_u32_e32 v31, 0x210, v31
	v_add_u32_e32 v30, 0x220, v30
	;; [unrolled: 1-line block ×4, first 2 shown]
	s_cmp_eq_u32 s63, s39
	s_mov_b32 s56, s39
	s_waitcnt lgkmcnt(0)
	s_cbranch_scc1 .LBB11_57
.LBB11_40:                              ;   Parent Loop BB11_12 Depth=1
                                        ; =>  This Loop Header: Depth=2
                                        ;       Child Loop BB11_45 Depth 3
                                        ;         Child Loop BB11_49 Depth 4
                                        ;       Child Loop BB11_52 Depth 3
                                        ;         Child Loop BB11_56 Depth 4
	s_and_saveexec_b64 s[12:13], s[2:3]
	s_xor_b64 s[12:13], exec, s[12:13]
; %bb.41:                               ;   in Loop: Header=BB11_40 Depth=2
; %bb.42:                               ;   in Loop: Header=BB11_40 Depth=2
	s_andn2_saveexec_b64 s[54:55], s[12:13]
	s_cbranch_execz .LBB11_39
; %bb.43:                               ;   in Loop: Header=BB11_40 Depth=2
	s_mul_i32 s66, s63, 0x108
	s_lshl_b32 s12, s63, 3
	s_add_i32 s67, s66, s12
	v_mov_b32_e32 v12, s67
	ds_read_b64 v[12:13], v12
	v_add_u32_e32 v32, s63, v19
	s_addk_i32 s66, 0x2100
	v_cmp_gt_i32_e64 s[12:13], s15, v32
	s_mov_b64 s[56:57], 0
	v_mov_b32_e32 v33, v31
	v_mov_b32_e32 v34, v11
	s_branch .LBB11_45
.LBB11_44:                              ;   in Loop: Header=BB11_45 Depth=3
	s_or_b64 exec, exec, s[58:59]
	v_add_u32_e32 v34, 32, v34
	v_cmp_le_i32_e32 vcc, s15, v34
	s_or_b64 s[56:57], vcc, s[56:57]
	v_add_u32_e32 v33, 0x100, v33
	s_andn2_b64 exec, exec, s[56:57]
	s_cbranch_execz .LBB11_50
.LBB11_45:                              ;   Parent Loop BB11_12 Depth=1
                                        ;     Parent Loop BB11_40 Depth=2
                                        ; =>    This Loop Header: Depth=3
                                        ;         Child Loop BB11_49 Depth 4
	v_lshl_add_u32 v35, v34, 3, s66
	ds_read_b64 v[14:15], v35
	s_waitcnt lgkmcnt(0)
	v_div_scale_f64 v[36:37], s[58:59], v[12:13], v[12:13], v[14:15]
	v_rcp_f64_e32 v[38:39], v[36:37]
	v_div_scale_f64 v[40:41], vcc, v[14:15], v[12:13], v[14:15]
	v_fma_f64 v[42:43], -v[36:37], v[38:39], 1.0
	v_fmac_f64_e32 v[38:39], v[38:39], v[42:43]
	v_fma_f64 v[42:43], -v[36:37], v[38:39], 1.0
	v_fmac_f64_e32 v[38:39], v[38:39], v[42:43]
	v_mul_f64 v[42:43], v[40:41], v[38:39]
	v_fma_f64 v[36:37], -v[36:37], v[42:43], v[40:41]
	v_div_fmas_f64 v[36:37], v[36:37], v[38:39], v[42:43]
	v_div_fixup_f64 v[14:15], v[36:37], v[12:13], v[14:15]
	s_and_saveexec_b64 s[58:59], s[6:7]
; %bb.46:                               ;   in Loop: Header=BB11_45 Depth=3
	ds_write_b64 v35, v[14:15]
; %bb.47:                               ;   in Loop: Header=BB11_45 Depth=3
	s_or_b64 exec, exec, s[58:59]
	s_and_saveexec_b64 s[58:59], s[12:13]
	s_cbranch_execz .LBB11_44
; %bb.48:                               ;   in Loop: Header=BB11_45 Depth=3
	s_mov_b64 s[60:61], 0
	v_mov_b32_e32 v35, v30
	v_mov_b32_e32 v36, v33
	;; [unrolled: 1-line block ×3, first 2 shown]
.LBB11_49:                              ;   Parent Loop BB11_12 Depth=1
                                        ;     Parent Loop BB11_40 Depth=2
                                        ;       Parent Loop BB11_45 Depth=3
                                        ; =>      This Inner Loop Header: Depth=4
	ds_read_b64 v[38:39], v35
	ds_read_b64 v[40:41], v36
	v_add_u32_e32 v37, 2, v37
	v_cmp_le_i32_e32 vcc, s15, v37
	s_or_b64 s[60:61], vcc, s[60:61]
	v_add_u32_e32 v35, 0x210, v35
	s_waitcnt lgkmcnt(0)
	v_fma_f64 v[38:39], -v[14:15], v[38:39], v[40:41]
	ds_write_b64 v36, v[38:39]
	v_add_u32_e32 v36, 0x210, v36
	s_andn2_b64 exec, exec, s[60:61]
	s_cbranch_execnz .LBB11_49
	s_branch .LBB11_44
.LBB11_50:                              ;   in Loop: Header=BB11_40 Depth=2
	s_or_b64 exec, exec, s[56:57]
	v_mov_b32_e32 v12, s67
	s_waitcnt lgkmcnt(0)
	ds_read_b64 v[12:13], v12 offset:272
	v_add3_u32 v32, v19, s63, 1
	v_cmp_gt_i32_e64 s[12:13], s15, v32
	s_mov_b64 s[56:57], 0
	v_mov_b32_e32 v33, v16
	v_mov_b32_e32 v34, v11
	s_branch .LBB11_52
.LBB11_51:                              ;   in Loop: Header=BB11_52 Depth=3
	s_or_b64 exec, exec, s[58:59]
	v_add_u32_e32 v34, 32, v34
	v_cmp_le_i32_e32 vcc, s15, v34
	s_or_b64 s[56:57], vcc, s[56:57]
	v_add_u32_e32 v33, 0x100, v33
	s_andn2_b64 exec, exec, s[56:57]
	s_cbranch_execz .LBB11_38
.LBB11_52:                              ;   Parent Loop BB11_12 Depth=1
                                        ;     Parent Loop BB11_40 Depth=2
                                        ; =>    This Loop Header: Depth=3
                                        ;         Child Loop BB11_56 Depth 4
	v_lshl_add_u32 v35, v34, 3, s66
	ds_read_b64 v[14:15], v35 offset:264
	s_waitcnt lgkmcnt(0)
	v_div_scale_f64 v[36:37], s[58:59], v[12:13], v[12:13], v[14:15]
	v_rcp_f64_e32 v[38:39], v[36:37]
	v_div_scale_f64 v[40:41], vcc, v[14:15], v[12:13], v[14:15]
	v_fma_f64 v[42:43], -v[36:37], v[38:39], 1.0
	v_fmac_f64_e32 v[38:39], v[38:39], v[42:43]
	v_fma_f64 v[42:43], -v[36:37], v[38:39], 1.0
	v_fmac_f64_e32 v[38:39], v[38:39], v[42:43]
	v_mul_f64 v[42:43], v[40:41], v[38:39]
	v_fma_f64 v[36:37], -v[36:37], v[42:43], v[40:41]
	v_div_fmas_f64 v[36:37], v[36:37], v[38:39], v[42:43]
	v_div_fixup_f64 v[14:15], v[36:37], v[12:13], v[14:15]
	s_and_saveexec_b64 s[58:59], s[6:7]
; %bb.53:                               ;   in Loop: Header=BB11_52 Depth=3
	ds_write_b64 v35, v[14:15] offset:264
; %bb.54:                               ;   in Loop: Header=BB11_52 Depth=3
	s_or_b64 exec, exec, s[58:59]
	s_and_saveexec_b64 s[58:59], s[12:13]
	s_cbranch_execz .LBB11_51
; %bb.55:                               ;   in Loop: Header=BB11_52 Depth=3
	s_mov_b64 s[60:61], 0
	v_mov_b32_e32 v35, v33
	v_mov_b32_e32 v36, v17
	;; [unrolled: 1-line block ×3, first 2 shown]
.LBB11_56:                              ;   Parent Loop BB11_12 Depth=1
                                        ;     Parent Loop BB11_40 Depth=2
                                        ;       Parent Loop BB11_52 Depth=3
                                        ; =>      This Inner Loop Header: Depth=4
	ds_read_b64 v[38:39], v36
	ds_read_b64 v[40:41], v35
	v_add_u32_e32 v37, 2, v37
	v_cmp_le_i32_e32 vcc, s15, v37
	v_add_u32_e32 v36, 0x210, v36
	s_or_b64 s[60:61], vcc, s[60:61]
	s_waitcnt lgkmcnt(0)
	v_fma_f64 v[38:39], -v[14:15], v[38:39], v[40:41]
	ds_write_b64 v35, v[38:39]
	v_add_u32_e32 v35, 0x210, v35
	s_andn2_b64 exec, exec, s[60:61]
	s_cbranch_execnz .LBB11_56
	s_branch .LBB11_51
.LBB11_57:                              ;   in Loop: Header=BB11_12 Depth=1
	s_andn2_b64 vcc, exec, s[52:53]
	s_cbranch_vccnz .LBB11_67
; %bb.58:                               ;   in Loop: Header=BB11_12 Depth=1
	s_and_saveexec_b64 s[54:55], s[0:1]
	s_cbranch_execz .LBB11_66
; %bb.59:                               ;   in Loop: Header=BB11_12 Depth=1
	s_mul_i32 s63, s56, 0x108
	s_lshl_b32 s12, s56, 3
	s_add_i32 s12, s63, s12
	v_mov_b32_e32 v12, s12
	ds_read_b64 v[12:13], v12
	v_add_u32_e32 v14, s56, v18
	v_add_u32_e32 v30, s56, v19
	v_mad_u64_u32 v[14:15], s[58:59], v14, s65, v[10:11]
	s_mulk_i32 s56, 0x110
	s_addk_i32 s63, 0x2100
	v_cmp_gt_i32_e64 s[12:13], s15, v30
	v_add_u32_e32 v15, s56, v24
	s_mov_b64 s[56:57], 0
	v_mov_b32_e32 v31, v11
	s_branch .LBB11_61
.LBB11_60:                              ;   in Loop: Header=BB11_61 Depth=2
	s_or_b64 exec, exec, s[58:59]
	v_add_u32_e32 v31, 32, v31
	v_cmp_le_i32_e32 vcc, s15, v31
	s_or_b64 s[56:57], vcc, s[56:57]
	v_add_u32_e32 v14, 0x100, v14
	s_andn2_b64 exec, exec, s[56:57]
	s_cbranch_execz .LBB11_66
.LBB11_61:                              ;   Parent Loop BB11_12 Depth=1
                                        ; =>  This Loop Header: Depth=2
                                        ;       Child Loop BB11_65 Depth 3
	v_lshl_add_u32 v32, v31, 3, s63
	ds_read_b64 v[16:17], v32
	s_waitcnt lgkmcnt(0)
	v_div_scale_f64 v[34:35], s[58:59], v[12:13], v[12:13], v[16:17]
	v_rcp_f64_e32 v[36:37], v[34:35]
	v_div_scale_f64 v[38:39], vcc, v[16:17], v[12:13], v[16:17]
	v_fma_f64 v[40:41], -v[34:35], v[36:37], 1.0
	v_fmac_f64_e32 v[36:37], v[36:37], v[40:41]
	v_fma_f64 v[40:41], -v[34:35], v[36:37], 1.0
	v_fmac_f64_e32 v[36:37], v[36:37], v[40:41]
	v_mul_f64 v[40:41], v[38:39], v[36:37]
	v_fma_f64 v[34:35], -v[34:35], v[40:41], v[38:39]
	v_div_fmas_f64 v[34:35], v[34:35], v[36:37], v[40:41]
	v_div_fixup_f64 v[16:17], v[34:35], v[12:13], v[16:17]
	s_and_saveexec_b64 s[58:59], s[6:7]
; %bb.62:                               ;   in Loop: Header=BB11_61 Depth=2
	ds_write_b64 v32, v[16:17]
; %bb.63:                               ;   in Loop: Header=BB11_61 Depth=2
	s_or_b64 exec, exec, s[58:59]
	s_and_saveexec_b64 s[58:59], s[12:13]
	s_cbranch_execz .LBB11_60
; %bb.64:                               ;   in Loop: Header=BB11_61 Depth=2
	s_mov_b64 s[60:61], 0
	v_mov_b32_e32 v32, v15
	v_mov_b32_e32 v33, v14
	;; [unrolled: 1-line block ×3, first 2 shown]
.LBB11_65:                              ;   Parent Loop BB11_12 Depth=1
                                        ;     Parent Loop BB11_61 Depth=2
                                        ; =>    This Inner Loop Header: Depth=3
	ds_read_b64 v[36:37], v32
	ds_read_b64 v[38:39], v33
	v_add_u32_e32 v34, 2, v34
	v_cmp_le_i32_e32 vcc, s15, v34
	s_or_b64 s[60:61], vcc, s[60:61]
	v_add_u32_e32 v32, 0x210, v32
	s_waitcnt lgkmcnt(0)
	v_fma_f64 v[36:37], -v[16:17], v[36:37], v[38:39]
	ds_write_b64 v33, v[36:37]
	v_add_u32_e32 v33, 0x210, v33
	s_andn2_b64 exec, exec, s[60:61]
	s_cbranch_execnz .LBB11_65
	s_branch .LBB11_60
.LBB11_66:                              ;   in Loop: Header=BB11_12 Depth=1
	s_or_b64 exec, exec, s[54:55]
	s_waitcnt lgkmcnt(0)
.LBB11_67:                              ;   in Loop: Header=BB11_12 Depth=1
	s_and_saveexec_b64 s[12:13], s[0:1]
	s_cbranch_execz .LBB11_77
; %bb.68:                               ;   in Loop: Header=BB11_12 Depth=1
	s_mul_i32 s63, s44, s15
	s_mov_b64 s[54:55], 0
	v_mov_b32_e32 v13, v22
	v_mov_b32_e32 v30, v7
	;; [unrolled: 1-line block ×3, first 2 shown]
	s_branch .LBB11_70
.LBB11_69:                              ;   in Loop: Header=BB11_70 Depth=2
	s_or_b64 exec, exec, s[56:57]
	v_add_u32_e32 v12, 32, v12
	v_cmp_le_i32_e32 vcc, s15, v12
	v_add_u32_e32 v30, s64, v30
	s_or_b64 s[54:55], vcc, s[54:55]
	v_add_u32_e32 v13, 0x100, v13
	s_andn2_b64 exec, exec, s[54:55]
	s_cbranch_execz .LBB11_77
.LBB11_70:                              ;   Parent Loop BB11_12 Depth=1
                                        ; =>  This Loop Header: Depth=2
                                        ;       Child Loop BB11_73 Depth 3
	s_and_saveexec_b64 s[56:57], s[4:5]
	s_cbranch_execz .LBB11_69
; %bb.71:                               ;   in Loop: Header=BB11_70 Depth=2
	s_mov_b64 s[58:59], 0
	v_mov_b32_e32 v31, v13
	v_mov_b32_e32 v32, v18
	s_branch .LBB11_73
.LBB11_72:                              ;   in Loop: Header=BB11_73 Depth=3
	v_add_u32_e32 v32, 2, v32
	v_ashrrev_i32_e32 v17, 31, v16
	v_cmp_le_i32_e32 vcc, s15, v32
	v_lshl_add_u64 v[16:17], v[16:17], 3, s[20:21]
	s_or_b64 s[58:59], vcc, s[58:59]
	v_add_u32_e32 v31, 0x210, v31
	s_waitcnt lgkmcnt(0)
	global_store_dwordx2 v[16:17], v[14:15], off
	s_andn2_b64 exec, exec, s[58:59]
	s_cbranch_execz .LBB11_69
.LBB11_73:                              ;   Parent Loop BB11_12 Depth=1
                                        ;     Parent Loop BB11_70 Depth=2
                                        ; =>    This Inner Loop Header: Depth=3
	ds_read_b64 v[14:15], v31
	s_and_b64 vcc, exec, s[46:47]
	s_cbranch_vccz .LBB11_75
; %bb.74:                               ;   in Loop: Header=BB11_73 Depth=3
	v_add_u32_e32 v16, s63, v32
	v_mad_u64_u32 v[16:17], s[60:61], v16, s15, v[12:13]
	s_cbranch_execnz .LBB11_72
	s_branch .LBB11_76
.LBB11_75:                              ;   in Loop: Header=BB11_73 Depth=3
                                        ; implicit-def: $vgpr16
.LBB11_76:                              ;   in Loop: Header=BB11_73 Depth=3
	v_add_u32_e32 v16, v30, v32
	s_branch .LBB11_72
.LBB11_77:                              ;   in Loop: Header=BB11_12 Depth=1
	s_or_b64 exec, exec, s[12:13]
	s_sub_i32 s66, s62, s14
	s_add_i32 s12, s45, 1
	s_cmp_ge_i32 s12, s66
	s_cbranch_scc1 .LBB11_11
; %bb.78:                               ;   in Loop: Header=BB11_12 Depth=1
	s_mul_i32 s13, s15, s12
	v_add_u32_e32 v12, s13, v11
	v_mul_lo_u32 v30, s15, v12
	s_branch .LBB11_82
.LBB11_79:                              ;   in Loop: Header=BB11_82 Depth=2
	s_or_b64 exec, exec, s[56:57]
.LBB11_80:                              ;   in Loop: Header=BB11_82 Depth=2
	s_or_b64 exec, exec, s[54:55]
.LBB11_81:                              ;   in Loop: Header=BB11_82 Depth=2
	s_add_i32 s12, s12, 1
	s_cmp_lt_i32 s12, s66
	v_add_u32_e32 v30, s41, v30
	s_waitcnt lgkmcnt(0)
	s_cbranch_scc0 .LBB11_11
.LBB11_82:                              ;   Parent Loop BB11_12 Depth=1
                                        ; =>  This Loop Header: Depth=2
                                        ;       Child Loop BB11_87 Depth 3
                                        ;       Child Loop BB11_96 Depth 3
                                        ;         Child Loop BB11_99 Depth 4
                                        ;       Child Loop BB11_105 Depth 3
                                        ;         Child Loop BB11_108 Depth 4
                                        ;           Child Loop BB11_109 Depth 5
	s_ashr_i32 s13, s12, 31
	s_lshl_b64 s[54:55], s[12:13], 2
	s_add_u32 s54, s18, s54
	s_addc_u32 s55, s19, s55
	global_load_dword v12, v28, s[54:55]
	v_mov_b32_e32 v13, s33
	s_and_saveexec_b64 s[54:55], s[8:9]
	s_cbranch_execz .LBB11_84
; %bb.83:                               ;   in Loop: Header=BB11_82 Depth=2
	global_load_dword v13, v[8:9], off
	s_waitcnt vmcnt(0)
	v_subrev_u32_e32 v13, s14, v13
.LBB11_84:                              ;   in Loop: Header=BB11_82 Depth=2
	s_or_b64 exec, exec, s[54:55]
	s_waitcnt vmcnt(0)
	v_subrev_u32_e32 v14, s14, v12
	v_cmp_lt_i32_e32 vcc, v13, v14
	v_mov_b32_e32 v15, v6
	s_and_saveexec_b64 s[54:55], vcc
	s_cbranch_execz .LBB11_90
; %bb.85:                               ;   in Loop: Header=BB11_82 Depth=2
	s_mov_b64 s[56:57], 0
	v_mov_b32_e32 v12, v6
	s_branch .LBB11_87
.LBB11_86:                              ;   in Loop: Header=BB11_87 Depth=3
	s_or_b64 exec, exec, s[58:59]
	v_cmp_ge_i32_e32 vcc, v13, v14
	s_or_b64 s[56:57], vcc, s[56:57]
	v_mov_b32_e32 v12, v15
	s_andn2_b64 exec, exec, s[56:57]
	s_cbranch_execz .LBB11_89
.LBB11_87:                              ;   Parent Loop BB11_12 Depth=1
                                        ;     Parent Loop BB11_82 Depth=2
                                        ; =>    This Inner Loop Header: Depth=3
	v_add_u32_e32 v15, 64, v12
	v_cmp_gt_i32_e32 vcc, s31, v15
	v_mov_b32_e32 v13, s33
	s_and_saveexec_b64 s[58:59], vcc
	s_cbranch_execz .LBB11_86
; %bb.88:                               ;   in Loop: Header=BB11_87 Depth=3
	v_ashrrev_i32_e32 v13, 31, v12
	v_lshl_add_u64 v[12:13], v[12:13], 2, s[18:19]
	global_load_dword v12, v[12:13], off offset:256
	s_waitcnt vmcnt(0)
	v_subrev_u32_e32 v13, s14, v12
	s_branch .LBB11_86
.LBB11_89:                              ;   in Loop: Header=BB11_82 Depth=2
	s_or_b64 exec, exec, s[56:57]
.LBB11_90:                              ;   in Loop: Header=BB11_82 Depth=2
	s_or_b64 exec, exec, s[54:55]
	v_cmp_eq_u32_e32 vcc, v13, v14
	s_cbranch_vccz .LBB11_81
; %bb.91:                               ;   in Loop: Header=BB11_82 Depth=2
	s_ff1_i32_b64 s13, vcc
	v_and_or_b32 v12, v29, 64, s13
	v_lshlrev_b32_e32 v12, 2, v12
	ds_bpermute_b32 v13, v12, v15
	s_and_saveexec_b64 s[54:55], s[2:3]
	s_xor_b64 s[54:55], exec, s[54:55]
	s_cbranch_execz .LBB11_93
; %bb.92:                               ;   in Loop: Header=BB11_82 Depth=2
	s_waitcnt lgkmcnt(0)
                                        ; implicit-def: $vgpr13
.LBB11_93:                              ;   in Loop: Header=BB11_82 Depth=2
	s_andn2_saveexec_b64 s[54:55], s[54:55]
	s_cbranch_execz .LBB11_80
; %bb.94:                               ;   in Loop: Header=BB11_82 Depth=2
	s_mul_i32 s13, s12, s15
	s_mov_b64 s[56:57], 0
	v_mov_b32_e32 v16, v21
	v_mov_b32_e32 v17, v30
	;; [unrolled: 1-line block ×3, first 2 shown]
	s_branch .LBB11_96
.LBB11_95:                              ;   in Loop: Header=BB11_96 Depth=3
	s_or_b64 exec, exec, s[58:59]
	v_add_u32_e32 v12, 32, v12
	v_cmp_le_i32_e32 vcc, s15, v12
	v_add_u32_e32 v17, s64, v17
	s_or_b64 s[56:57], vcc, s[56:57]
	v_add_u32_e32 v16, 0x100, v16
	s_andn2_b64 exec, exec, s[56:57]
	s_cbranch_execz .LBB11_103
.LBB11_96:                              ;   Parent Loop BB11_12 Depth=1
                                        ;     Parent Loop BB11_82 Depth=2
                                        ; =>    This Loop Header: Depth=3
                                        ;         Child Loop BB11_99 Depth 4
	s_and_saveexec_b64 s[58:59], s[4:5]
	s_cbranch_execz .LBB11_95
; %bb.97:                               ;   in Loop: Header=BB11_96 Depth=3
	s_mov_b64 s[60:61], 0
	v_mov_b32_e32 v31, v16
	v_mov_b32_e32 v32, v18
	s_branch .LBB11_99
.LBB11_98:                              ;   in Loop: Header=BB11_99 Depth=4
	v_ashrrev_i32_e32 v15, 31, v14
	v_lshl_add_u64 v[14:15], v[14:15], 3, s[20:21]
	global_load_dwordx2 v[14:15], v[14:15], off
	v_add_u32_e32 v32, 2, v32
	v_cmp_le_i32_e32 vcc, s15, v32
	s_or_b64 s[60:61], vcc, s[60:61]
	s_waitcnt vmcnt(0)
	ds_write_b64 v31, v[14:15]
	v_add_u32_e32 v31, 0x210, v31
	s_andn2_b64 exec, exec, s[60:61]
	s_cbranch_execz .LBB11_95
.LBB11_99:                              ;   Parent Loop BB11_12 Depth=1
                                        ;     Parent Loop BB11_82 Depth=2
                                        ;       Parent Loop BB11_96 Depth=3
                                        ; =>      This Inner Loop Header: Depth=4
	s_and_b64 vcc, exec, s[46:47]
	s_cbranch_vccz .LBB11_101
; %bb.100:                              ;   in Loop: Header=BB11_99 Depth=4
	v_add_u32_e32 v14, s13, v32
	s_waitcnt lgkmcnt(0)
	v_mad_u64_u32 v[14:15], s[62:63], v14, s15, v[12:13]
	s_cbranch_execnz .LBB11_98
	s_branch .LBB11_102
.LBB11_101:                             ;   in Loop: Header=BB11_99 Depth=4
                                        ; implicit-def: $vgpr14
.LBB11_102:                             ;   in Loop: Header=BB11_99 Depth=4
	v_add_u32_e32 v14, v17, v32
	s_branch .LBB11_98
.LBB11_103:                             ;   in Loop: Header=BB11_82 Depth=2
	s_or_b64 exec, exec, s[56:57]
	s_waitcnt lgkmcnt(0)
	v_mul_lo_u32 v13, v13, s15
	s_mov_b64 s[56:57], 0
	v_mov_b32_e32 v31, v27
	v_mov_b32_e32 v12, v11
	s_branch .LBB11_105
.LBB11_104:                             ;   in Loop: Header=BB11_105 Depth=3
	s_or_b64 exec, exec, s[58:59]
	v_add_u32_e32 v12, 32, v12
	v_cmp_le_i32_e32 vcc, s15, v12
	s_or_b64 s[56:57], vcc, s[56:57]
	v_add_u32_e32 v31, 0x100, v31
	s_andn2_b64 exec, exec, s[56:57]
	s_cbranch_execz .LBB11_79
.LBB11_105:                             ;   Parent Loop BB11_12 Depth=1
                                        ;     Parent Loop BB11_82 Depth=2
                                        ; =>    This Loop Header: Depth=3
                                        ;         Child Loop BB11_108 Depth 4
                                        ;           Child Loop BB11_109 Depth 5
	s_and_saveexec_b64 s[58:59], s[4:5]
	s_cbranch_execz .LBB11_104
; %bb.106:                              ;   in Loop: Header=BB11_105 Depth=3
	v_add_u32_e32 v14, v12, v13
	v_mul_lo_u32 v32, v14, s15
	s_mov_b64 s[60:61], 0
	v_mov_b32_e32 v33, v20
	v_mov_b32_e32 v34, v18
	s_branch .LBB11_108
.LBB11_107:                             ;   in Loop: Header=BB11_108 Depth=4
	v_ashrrev_i32_e32 v17, 31, v16
	v_lshl_add_u64 v[16:17], v[16:17], 3, s[20:21]
	global_load_dwordx2 v[36:37], v[16:17], off
	v_add_u32_e32 v34, 2, v34
	v_cmp_le_i32_e32 vcc, s15, v34
	s_or_b64 s[60:61], vcc, s[60:61]
	v_add_u32_e32 v33, 0x210, v33
	s_waitcnt vmcnt(0)
	v_add_f64 v[14:15], v[36:37], -v[14:15]
	global_store_dwordx2 v[16:17], v[14:15], off
	s_andn2_b64 exec, exec, s[60:61]
	s_cbranch_execz .LBB11_104
.LBB11_108:                             ;   Parent Loop BB11_12 Depth=1
                                        ;     Parent Loop BB11_82 Depth=2
                                        ;       Parent Loop BB11_105 Depth=3
                                        ; =>      This Loop Header: Depth=4
                                        ;           Child Loop BB11_109 Depth 5
	v_mov_b64_e32 v[14:15], 0
	v_mov_b32_e32 v16, v31
	v_mov_b32_e32 v17, v33
	s_mov_b32 s13, s15
.LBB11_109:                             ;   Parent Loop BB11_12 Depth=1
                                        ;     Parent Loop BB11_82 Depth=2
                                        ;       Parent Loop BB11_105 Depth=3
                                        ;         Parent Loop BB11_108 Depth=4
                                        ; =>        This Inner Loop Header: Depth=5
	ds_read_b64 v[36:37], v16
	ds_read_b64 v[38:39], v17
	s_add_i32 s13, s13, -1
	v_add_u32_e32 v17, 8, v17
	v_add_u32_e32 v16, 0x108, v16
	s_cmp_eq_u32 s13, 0
	s_waitcnt lgkmcnt(0)
	v_fmac_f64_e32 v[14:15], v[36:37], v[38:39]
	s_cbranch_scc0 .LBB11_109
; %bb.110:                              ;   in Loop: Header=BB11_108 Depth=4
	s_and_b64 vcc, exec, s[46:47]
	s_cbranch_vccz .LBB11_112
; %bb.111:                              ;   in Loop: Header=BB11_108 Depth=4
	v_add_u32_e32 v16, v34, v13
	v_mad_u64_u32 v[16:17], s[62:63], v16, s15, v[12:13]
	s_cbranch_execnz .LBB11_107
	s_branch .LBB11_113
.LBB11_112:                             ;   in Loop: Header=BB11_108 Depth=4
                                        ; implicit-def: $vgpr16
.LBB11_113:                             ;   in Loop: Header=BB11_108 Depth=4
	v_add_u32_e32 v16, v34, v32
	s_branch .LBB11_107
.LBB11_114:
	s_ashr_i32 s39, s38, 31
	s_lshl_b64 s[0:1], s[38:39], 2
	s_add_u32 s0, s18, s0
	s_addc_u32 s1, s19, s1
	v_mov_b32_e32 v6, 0
	global_load_dword v6, v6, s[0:1]
	s_waitcnt vmcnt(0)
	v_subrev_u32_e32 v6, s14, v6
	v_cmp_ne_u32_e32 vcc, s30, v6
	s_cbranch_vccnz .LBB11_159
; %bb.115:
	v_and_b32_e32 v6, 0x3ff, v0
	v_cmp_gt_i32_e64 s[0:1], s15, v6
	v_lshlrev_b32_e32 v7, 3, v6
	s_and_saveexec_b64 s[4:5], s[0:1]
	s_cbranch_execz .LBB11_126
; %bb.116:
	s_mul_i32 s18, s38, s15
	v_bfe_u32 v9, v0, 10, 10
	s_cmp_lg_u32 s40, 0
	v_add_u32_e32 v8, s18, v6
	s_movk_i32 s8, 0x108
	v_cmp_gt_u32_e64 s[2:3], s15, v9
	s_cselect_b64 s[6:7], -1, 0
	v_mul_lo_u32 v12, s15, v8
	s_lshl_b32 s19, s15, 5
	v_mad_u32_u24 v13, v9, s8, v7
	s_mov_b64 s[8:9], 0
	v_mov_b32_e32 v8, v6
	s_branch .LBB11_118
.LBB11_117:                             ;   in Loop: Header=BB11_118 Depth=1
	s_or_b64 exec, exec, s[10:11]
	v_add_u32_e32 v8, 32, v8
	v_cmp_le_i32_e32 vcc, s15, v8
	v_add_u32_e32 v12, s19, v12
	s_or_b64 s[8:9], vcc, s[8:9]
	v_add_u32_e32 v13, 0x100, v13
	s_andn2_b64 exec, exec, s[8:9]
	s_cbranch_execz .LBB11_126
.LBB11_118:                             ; =>This Loop Header: Depth=1
                                        ;     Child Loop BB11_121 Depth 2
	s_and_saveexec_b64 s[10:11], s[2:3]
	s_cbranch_execz .LBB11_117
; %bb.119:                              ;   in Loop: Header=BB11_118 Depth=1
	s_mov_b64 s[12:13], 0
	v_mov_b32_e32 v14, v13
	v_mov_b32_e32 v15, v9
	s_branch .LBB11_121
.LBB11_120:                             ;   in Loop: Header=BB11_121 Depth=2
	v_ashrrev_i32_e32 v11, 31, v10
	v_lshl_add_u64 v[10:11], v[10:11], 3, s[20:21]
	global_load_dwordx2 v[10:11], v[10:11], off
	v_add_u32_e32 v15, 2, v15
	v_cmp_le_i32_e32 vcc, s15, v15
	s_or_b64 s[12:13], vcc, s[12:13]
	s_waitcnt vmcnt(0)
	ds_write_b64 v14, v[10:11]
	v_add_u32_e32 v14, 0x210, v14
	s_andn2_b64 exec, exec, s[12:13]
	s_cbranch_execz .LBB11_117
.LBB11_121:                             ;   Parent Loop BB11_118 Depth=1
                                        ; =>  This Inner Loop Header: Depth=2
	s_and_b64 vcc, exec, s[6:7]
	s_cbranch_vccz .LBB11_123
; %bb.122:                              ;   in Loop: Header=BB11_121 Depth=2
	v_add_u32_e32 v10, s18, v15
	v_mad_u64_u32 v[10:11], s[16:17], v10, s15, v[8:9]
	s_cbranch_execnz .LBB11_120
	s_branch .LBB11_124
.LBB11_123:                             ;   in Loop: Header=BB11_121 Depth=2
                                        ; implicit-def: $vgpr10
.LBB11_124:                             ;   in Loop: Header=BB11_121 Depth=2
	v_add_u32_e32 v10, v12, v15
	s_branch .LBB11_120
.LBB11_125:
	s_mov_b64 s[36:37], -1
	s_branch .LBB11_211
.LBB11_126:
	s_or_b64 exec, exec, s[4:5]
	s_cmp_lt_i32 s15, 1
	s_waitcnt lgkmcnt(0)
	s_cbranch_scc1 .LBB11_148
; %bb.127:
	s_cmp_eq_u64 s[24:25], 8
	v_cvt_f64_f32_e32 v[8:9], v1
	s_cselect_b64 vcc, -1, 0
	v_bfe_u32 v1, v0, 10, 10
	v_cndmask_b32_e32 v4, v8, v4, vcc
	v_or_b32_e32 v8, v6, v1
	v_cmp_eq_u32_e64 s[2:3], 0, v8
	v_mul_u32_u24_e32 v8, 0x108, v1
	s_movk_i32 s7, 0x110
	s_movk_i32 s6, 0x108
	v_add3_u32 v12, v8, v7, s7
	v_cndmask_b32_e64 v8, 0, 1, s[42:43]
	v_cndmask_b32_e32 v5, v9, v5, vcc
	s_mov_b32 s22, 0
	v_cmp_eq_u32_e64 s[4:5], 0, v1
	v_mad_u32_u24 v13, v1, s6, s6
	v_cmp_ne_u32_e64 s[6:7], 1, v8
.LBB11_128:                             ; =>This Loop Header: Depth=1
                                        ;     Child Loop BB11_140 Depth 2
                                        ;       Child Loop BB11_144 Depth 3
	s_mul_i32 s23, s22, 0x108
	s_lshl_b32 s8, s22, 3
	s_add_i32 s12, s23, s8
	v_mov_b32_e32 v8, s12
	s_waitcnt lgkmcnt(0)
	ds_read_b64 v[10:11], v8
	s_mov_b64 s[10:11], -1
	s_and_b64 vcc, exec, s[6:7]
	s_mov_b64 s[8:9], 0
                                        ; implicit-def: $vgpr8_vgpr9
	s_cbranch_vccz .LBB11_133
; %bb.129:                              ;   in Loop: Header=BB11_128 Depth=1
	s_andn2_b64 vcc, exec, s[10:11]
	s_mov_b64 s[10:11], 0
	s_cbranch_vccz .LBB11_136
.LBB11_130:                             ;   in Loop: Header=BB11_128 Depth=1
	s_andn2_b64 vcc, exec, s[8:9]
                                        ; implicit-def: $sgpr24
	s_cbranch_vccz .LBB11_137
.LBB11_131:                             ;   in Loop: Header=BB11_128 Depth=1
	s_andn2_b64 vcc, exec, s[10:11]
	s_cbranch_vccz .LBB11_146
.LBB11_132:                             ;   in Loop: Header=BB11_128 Depth=1
	v_add_u32_e32 v12, 0x110, v12
	s_cmp_eq_u32 s24, s15
	v_add_u32_e32 v13, 0x110, v13
	s_cbranch_scc0 .LBB11_147
	s_branch .LBB11_148
.LBB11_133:                             ;   in Loop: Header=BB11_128 Depth=1
	s_waitcnt lgkmcnt(0)
	v_cmp_ge_f64_e64 vcc, v[4:5], |v[10:11]|
	s_nop 1
	v_cndmask_b32_e32 v9, v11, v3, vcc
	v_cndmask_b32_e32 v8, v10, v2, vcc
	s_and_saveexec_b64 s[8:9], s[2:3]
; %bb.134:                              ;   in Loop: Header=BB11_128 Depth=1
	v_mov_b32_e32 v14, s12
	ds_write_b64 v14, v[8:9]
; %bb.135:                              ;   in Loop: Header=BB11_128 Depth=1
	s_or_b64 exec, exec, s[8:9]
	s_mov_b64 s[8:9], -1
	s_mov_b64 s[10:11], 0
	s_cbranch_execnz .LBB11_130
.LBB11_136:                             ;   in Loop: Header=BB11_128 Depth=1
	s_waitcnt lgkmcnt(0)
	v_cmp_neq_f64_e64 s[8:9], 0, v[10:11]
	s_mov_b64 s[10:11], -1
	v_mov_b64_e32 v[8:9], v[10:11]
	s_andn2_b64 vcc, exec, s[8:9]
                                        ; implicit-def: $sgpr24
	s_cbranch_vccnz .LBB11_131
.LBB11_137:                             ;   in Loop: Header=BB11_128 Depth=1
	s_add_i32 s24, s22, 1
	v_add_u32_e32 v14, s24, v6
	v_cmp_gt_i32_e32 vcc, s15, v14
	s_and_saveexec_b64 s[10:11], vcc
	s_cbranch_execz .LBB11_145
; %bb.138:                              ;   in Loop: Header=BB11_128 Depth=1
	v_add_u32_e32 v15, s24, v1
	v_cmp_gt_i32_e64 s[8:9], s15, v15
	s_mov_b64 s[12:13], 0
	v_mov_b32_e32 v16, v12
	s_branch .LBB11_140
.LBB11_139:                             ;   in Loop: Header=BB11_140 Depth=2
	s_or_b64 exec, exec, s[16:17]
	v_add_u32_e32 v14, 32, v14
	v_cmp_le_i32_e32 vcc, s15, v14
	s_or_b64 s[12:13], vcc, s[12:13]
	v_add_u32_e32 v16, 0x100, v16
	s_andn2_b64 exec, exec, s[12:13]
	s_cbranch_execz .LBB11_145
.LBB11_140:                             ;   Parent Loop BB11_128 Depth=1
                                        ; =>  This Loop Header: Depth=2
                                        ;       Child Loop BB11_144 Depth 3
	v_lshl_add_u32 v17, v14, 3, s23
	s_waitcnt lgkmcnt(0)
	ds_read_b64 v[10:11], v17
	s_waitcnt lgkmcnt(0)
	v_div_scale_f64 v[18:19], s[16:17], v[8:9], v[8:9], v[10:11]
	v_rcp_f64_e32 v[20:21], v[18:19]
	v_div_scale_f64 v[22:23], vcc, v[10:11], v[8:9], v[10:11]
	v_fma_f64 v[24:25], -v[18:19], v[20:21], 1.0
	v_fmac_f64_e32 v[20:21], v[20:21], v[24:25]
	v_fma_f64 v[24:25], -v[18:19], v[20:21], 1.0
	v_fmac_f64_e32 v[20:21], v[20:21], v[24:25]
	v_mul_f64 v[24:25], v[22:23], v[20:21]
	v_fma_f64 v[18:19], -v[18:19], v[24:25], v[22:23]
	v_div_fmas_f64 v[18:19], v[18:19], v[20:21], v[24:25]
	v_div_fixup_f64 v[10:11], v[18:19], v[8:9], v[10:11]
	s_and_saveexec_b64 s[16:17], s[4:5]
; %bb.141:                              ;   in Loop: Header=BB11_140 Depth=2
	ds_write_b64 v17, v[10:11]
; %bb.142:                              ;   in Loop: Header=BB11_140 Depth=2
	s_or_b64 exec, exec, s[16:17]
	s_and_saveexec_b64 s[16:17], s[8:9]
	s_cbranch_execz .LBB11_139
; %bb.143:                              ;   in Loop: Header=BB11_140 Depth=2
	s_mov_b64 s[18:19], 0
	v_mov_b32_e32 v17, v13
	v_mov_b32_e32 v18, v16
	;; [unrolled: 1-line block ×3, first 2 shown]
.LBB11_144:                             ;   Parent Loop BB11_128 Depth=1
                                        ;     Parent Loop BB11_140 Depth=2
                                        ; =>    This Inner Loop Header: Depth=3
	ds_read_b64 v[20:21], v17
	ds_read_b64 v[22:23], v18
	v_add_u32_e32 v19, 2, v19
	v_cmp_le_i32_e32 vcc, s15, v19
	s_or_b64 s[18:19], vcc, s[18:19]
	v_add_u32_e32 v17, 0x210, v17
	s_waitcnt lgkmcnt(0)
	v_fma_f64 v[20:21], -v[10:11], v[20:21], v[22:23]
	ds_write_b64 v18, v[20:21]
	v_add_u32_e32 v18, 0x210, v18
	s_andn2_b64 exec, exec, s[18:19]
	s_cbranch_execnz .LBB11_144
	s_branch .LBB11_139
.LBB11_145:                             ;   in Loop: Header=BB11_128 Depth=1
	s_or_b64 exec, exec, s[10:11]
	s_cbranch_execnz .LBB11_132
.LBB11_146:                             ;   in Loop: Header=BB11_128 Depth=1
	s_add_i32 s24, s22, 1
	s_mov_b64 s[36:37], -1
	v_add_u32_e32 v12, 0x110, v12
	s_cmp_eq_u32 s24, s15
	v_add_u32_e32 v13, 0x110, v13
	s_cbranch_scc1 .LBB11_148
.LBB11_147:                             ;   in Loop: Header=BB11_128 Depth=1
	s_mov_b32 s22, s24
	s_branch .LBB11_128
.LBB11_148:
	s_waitcnt lgkmcnt(0)
	s_and_saveexec_b64 s[2:3], s[0:1]
	s_cbranch_execz .LBB11_158
; %bb.149:
	s_mul_i32 s16, s38, s15
	v_bfe_u32 v1, v0, 10, 10
	s_cmp_lg_u32 s40, 0
	v_add_u32_e32 v2, s16, v6
	s_movk_i32 s6, 0x108
	v_cmp_gt_u32_e64 s[0:1], s15, v1
	s_cselect_b64 s[4:5], -1, 0
	v_mul_lo_u32 v8, s15, v2
	s_lshl_b32 s17, s15, 5
	v_mad_u32_u24 v7, v1, s6, v7
	s_mov_b64 s[6:7], 0
	s_branch .LBB11_151
.LBB11_150:                             ;   in Loop: Header=BB11_151 Depth=1
	s_or_b64 exec, exec, s[8:9]
	v_add_u32_e32 v6, 32, v6
	v_cmp_le_i32_e32 vcc, s15, v6
	v_add_u32_e32 v8, s17, v8
	s_or_b64 s[6:7], vcc, s[6:7]
	v_add_u32_e32 v7, 0x100, v7
	s_andn2_b64 exec, exec, s[6:7]
	s_cbranch_execz .LBB11_158
.LBB11_151:                             ; =>This Loop Header: Depth=1
                                        ;     Child Loop BB11_154 Depth 2
	s_and_saveexec_b64 s[8:9], s[0:1]
	s_cbranch_execz .LBB11_150
; %bb.152:                              ;   in Loop: Header=BB11_151 Depth=1
	s_mov_b64 s[10:11], 0
	v_mov_b32_e32 v9, v7
	v_mov_b32_e32 v10, v1
	s_branch .LBB11_154
.LBB11_153:                             ;   in Loop: Header=BB11_154 Depth=2
	v_add_u32_e32 v10, 2, v10
	v_ashrrev_i32_e32 v5, 31, v4
	v_cmp_le_i32_e32 vcc, s15, v10
	v_lshl_add_u64 v[4:5], v[4:5], 3, s[20:21]
	s_or_b64 s[10:11], vcc, s[10:11]
	v_add_u32_e32 v9, 0x210, v9
	s_waitcnt lgkmcnt(0)
	global_store_dwordx2 v[4:5], v[2:3], off
	s_andn2_b64 exec, exec, s[10:11]
	s_cbranch_execz .LBB11_150
.LBB11_154:                             ;   Parent Loop BB11_151 Depth=1
                                        ; =>  This Inner Loop Header: Depth=2
	ds_read_b64 v[2:3], v9
	s_and_b64 vcc, exec, s[4:5]
	s_cbranch_vccz .LBB11_156
; %bb.155:                              ;   in Loop: Header=BB11_154 Depth=2
	v_add_u32_e32 v4, s16, v10
	v_mad_u64_u32 v[4:5], s[12:13], v4, s15, v[6:7]
	s_cbranch_execnz .LBB11_153
	s_branch .LBB11_157
.LBB11_156:                             ;   in Loop: Header=BB11_154 Depth=2
                                        ; implicit-def: $vgpr4
.LBB11_157:                             ;   in Loop: Header=BB11_154 Depth=2
	v_add_u32_e32 v4, v8, v10
	s_branch .LBB11_153
.LBB11_158:
	s_or_b64 exec, exec, s[2:3]
.LBB11_159:
	s_add_i32 s33, s38, 1
	s_cmp_ge_i32 s33, s31
	s_cbranch_scc1 .LBB11_211
; %bb.160:
	v_and_b32_e32 v1, 0x3ff, v0
	s_mul_i32 s12, s15, s33
	v_bfe_u32 v3, v0, 10, 10
	s_cmp_lg_u32 s40, 0
	v_add_u32_e32 v2, s12, v1
	s_cselect_b64 s[16:17], -1, 0
	s_cmp_gt_i32 s15, 0
	v_mul_lo_u32 v9, s15, v2
	v_mul_u32_u24_e32 v2, 0x108, v3
	v_lshlrev_b32_e32 v4, 3, v1
	s_movk_i32 s12, 0x2100
	s_cselect_b64 s[6:7], -1, 0
	s_cmp_lg_u32 s15, 1
	s_movk_i32 s45, 0x108
	v_add3_u32 v10, v2, v4, s12
	v_lshlrev_b32_e32 v2, 3, v3
	s_cselect_b64 s[8:9], -1, 0
	s_and_b32 s42, s15, 0x7ffffffe
	v_mad_u32_u24 v4, v1, s45, v2
	v_add_u32_e32 v12, 8, v2
	v_add_u32_e32 v13, 0x118, v2
	v_mov_b32_e32 v2, 0x2108
	s_bitcmp1_b32 s15, 0
	v_mad_u32_u24 v15, v1, s45, v2
	v_cndmask_b32_e64 v2, 0, 1, s[6:7]
	s_cselect_b64 s[10:11], -1, 0
	v_cmp_ne_u32_e64 s[6:7], 1, v2
	v_cndmask_b32_e64 v2, 0, 1, s[8:9]
	v_cmp_ne_u32_e64 s[8:9], 1, v2
	v_cndmask_b32_e64 v2, 0, 1, s[10:11]
	v_cmp_gt_i32_e64 s[0:1], s15, v1
	v_cmp_le_i32_e64 s[2:3], s15, v1
	v_cmp_gt_i32_e64 s[4:5], s15, v3
	v_add_u32_e32 v8, 1, v3
	s_mul_i32 s43, s15, s15
	s_lshl_b32 s44, s15, 5
	v_add_u32_e32 v11, 0x2108, v4
	v_add_u32_e32 v14, 0x2110, v4
	v_cmp_ne_u32_e64 s[10:11], 1, v2
	s_branch .LBB11_163
.LBB11_161:                             ;   in Loop: Header=BB11_163 Depth=1
	s_or_b64 exec, exec, s[18:19]
.LBB11_162:                             ;   in Loop: Header=BB11_163 Depth=1
	s_or_b64 exec, exec, s[12:13]
	s_add_i32 s33, s33, 1
	s_cmp_ge_i32 s33, s31
	v_add_u32_e32 v9, s43, v9
	s_cbranch_scc1 .LBB11_211
.LBB11_163:                             ; =>This Loop Header: Depth=1
                                        ;     Child Loop BB11_166 Depth 2
                                        ;       Child Loop BB11_169 Depth 3
                                        ;     Child Loop BB11_177 Depth 2
                                        ;       Child Loop BB11_180 Depth 3
                                        ;         Child Loop BB11_182 Depth 4
                                        ;       Child Loop BB11_185 Depth 3
                                        ;         Child Loop BB11_187 Depth 4
                                        ;     Child Loop BB11_194 Depth 2
                                        ;       Child Loop BB11_196 Depth 3
                                        ;     Child Loop BB11_204 Depth 2
                                        ;       Child Loop BB11_207 Depth 3
	s_waitcnt lgkmcnt(0)
	s_and_saveexec_b64 s[12:13], s[0:1]
	s_cbranch_execz .LBB11_173
; %bb.164:                              ;   in Loop: Header=BB11_163 Depth=1
	s_mul_i32 s40, s33, s15
	s_mov_b64 s[18:19], 0
	v_mov_b32_e32 v6, v10
	v_mov_b32_e32 v7, v9
	;; [unrolled: 1-line block ×3, first 2 shown]
	s_branch .LBB11_166
.LBB11_165:                             ;   in Loop: Header=BB11_166 Depth=2
	s_or_b64 exec, exec, s[22:23]
	v_add_u32_e32 v2, 32, v2
	v_cmp_le_i32_e32 vcc, s15, v2
	v_add_u32_e32 v7, s44, v7
	s_or_b64 s[18:19], vcc, s[18:19]
	v_add_u32_e32 v6, 0x100, v6
	s_andn2_b64 exec, exec, s[18:19]
	s_cbranch_execz .LBB11_173
.LBB11_166:                             ;   Parent Loop BB11_163 Depth=1
                                        ; =>  This Loop Header: Depth=2
                                        ;       Child Loop BB11_169 Depth 3
	s_and_saveexec_b64 s[22:23], s[4:5]
	s_cbranch_execz .LBB11_165
; %bb.167:                              ;   in Loop: Header=BB11_166 Depth=2
	s_mov_b64 s[24:25], 0
	v_mov_b32_e32 v16, v6
	v_mov_b32_e32 v17, v3
	s_branch .LBB11_169
.LBB11_168:                             ;   in Loop: Header=BB11_169 Depth=3
	v_ashrrev_i32_e32 v5, 31, v4
	v_lshl_add_u64 v[4:5], v[4:5], 3, s[20:21]
	global_load_dwordx2 v[4:5], v[4:5], off
	v_add_u32_e32 v17, 2, v17
	v_cmp_le_i32_e32 vcc, s15, v17
	s_or_b64 s[24:25], vcc, s[24:25]
	s_waitcnt vmcnt(0)
	ds_write_b64 v16, v[4:5]
	v_add_u32_e32 v16, 0x210, v16
	s_andn2_b64 exec, exec, s[24:25]
	s_cbranch_execz .LBB11_165
.LBB11_169:                             ;   Parent Loop BB11_163 Depth=1
                                        ;     Parent Loop BB11_166 Depth=2
                                        ; =>    This Inner Loop Header: Depth=3
	s_and_b64 vcc, exec, s[16:17]
	s_cbranch_vccz .LBB11_171
; %bb.170:                              ;   in Loop: Header=BB11_169 Depth=3
	v_add_u32_e32 v4, s40, v17
	v_mad_u64_u32 v[4:5], s[38:39], v4, s15, v[2:3]
	s_cbranch_execnz .LBB11_168
	s_branch .LBB11_172
.LBB11_171:                             ;   in Loop: Header=BB11_169 Depth=3
                                        ; implicit-def: $vgpr4
.LBB11_172:                             ;   in Loop: Header=BB11_169 Depth=3
	v_add_u32_e32 v4, v7, v17
	s_branch .LBB11_168
.LBB11_173:                             ;   in Loop: Header=BB11_163 Depth=1
	s_or_b64 exec, exec, s[12:13]
	s_and_b64 vcc, exec, s[6:7]
	s_waitcnt lgkmcnt(0)
	s_cbranch_vccnz .LBB11_197
; %bb.174:                              ;   in Loop: Header=BB11_163 Depth=1
	s_and_b64 vcc, exec, s[8:9]
	s_mov_b32 s24, 0
	s_cbranch_vccnz .LBB11_188
; %bb.175:                              ;   in Loop: Header=BB11_163 Depth=1
	s_mov_b32 s40, 0
	v_mov_b32_e32 v2, v14
	v_mov_b32_e32 v4, v13
	;; [unrolled: 1-line block ×4, first 2 shown]
	s_branch .LBB11_177
.LBB11_176:                             ;   in Loop: Header=BB11_177 Depth=2
	s_or_b64 exec, exec, s[18:19]
	s_add_i32 s40, s40, 2
	v_add_u32_e32 v6, 16, v6
	v_add_u32_e32 v5, 0x220, v5
	;; [unrolled: 1-line block ×4, first 2 shown]
	s_cmp_eq_u32 s40, s42
	s_mov_b32 s24, s42
	s_cbranch_scc1 .LBB11_188
.LBB11_177:                             ;   Parent Loop BB11_163 Depth=1
                                        ; =>  This Loop Header: Depth=2
                                        ;       Child Loop BB11_180 Depth 3
                                        ;         Child Loop BB11_182 Depth 4
                                        ;       Child Loop BB11_185 Depth 3
                                        ;         Child Loop BB11_187 Depth 4
	s_and_saveexec_b64 s[18:19], s[0:1]
	s_cbranch_execz .LBB11_176
; %bb.178:                              ;   in Loop: Header=BB11_177 Depth=2
	v_add_u32_e32 v7, s40, v8
	s_lshl_b32 s41, s40, 3
	v_cmp_gt_i32_e32 vcc, s15, v7
	s_mov_b64 s[22:23], 0
	s_addk_i32 s41, 0x2100
	v_mov_b32_e32 v16, v6
	v_mov_b32_e32 v17, v1
	s_branch .LBB11_180
.LBB11_179:                             ;   in Loop: Header=BB11_180 Depth=3
	s_or_b64 exec, exec, s[24:25]
	v_add_u32_e32 v17, 32, v17
	v_cmp_le_i32_e64 s[12:13], s15, v17
	s_or_b64 s[22:23], s[12:13], s[22:23]
	v_add_u32_e32 v16, 0x2100, v16
	s_andn2_b64 exec, exec, s[22:23]
	s_cbranch_execz .LBB11_183
.LBB11_180:                             ;   Parent Loop BB11_163 Depth=1
                                        ;     Parent Loop BB11_177 Depth=2
                                        ; =>    This Loop Header: Depth=3
                                        ;         Child Loop BB11_182 Depth 4
	s_and_saveexec_b64 s[24:25], vcc
	s_cbranch_execz .LBB11_179
; %bb.181:                              ;   in Loop: Header=BB11_180 Depth=3
	v_mul_lo_u32 v18, v17, s45
	v_add_u32_e32 v18, s41, v18
	s_mov_b64 s[38:39], 0
	v_mov_b32_e32 v19, v5
	v_mov_b32_e32 v20, v16
	;; [unrolled: 1-line block ×3, first 2 shown]
.LBB11_182:                             ;   Parent Loop BB11_163 Depth=1
                                        ;     Parent Loop BB11_177 Depth=2
                                        ;       Parent Loop BB11_180 Depth=3
                                        ; =>      This Inner Loop Header: Depth=4
	ds_read_b64 v[22:23], v19
	ds_read_b64 v[24:25], v18
	;; [unrolled: 1-line block ×3, first 2 shown]
	v_add_u32_e32 v21, 2, v21
	v_cmp_le_i32_e64 s[12:13], s15, v21
	s_or_b64 s[38:39], s[12:13], s[38:39]
	v_add_u32_e32 v19, 16, v19
	s_waitcnt lgkmcnt(0)
	v_fma_f64 v[22:23], -v[22:23], v[24:25], v[26:27]
	ds_write_b64 v20, v[22:23]
	v_add_u32_e32 v20, 16, v20
	s_andn2_b64 exec, exec, s[38:39]
	s_cbranch_execnz .LBB11_182
	s_branch .LBB11_179
.LBB11_183:                             ;   in Loop: Header=BB11_177 Depth=2
	s_or_b64 exec, exec, s[22:23]
	v_add3_u32 v7, v8, s40, 1
	v_cmp_gt_i32_e32 vcc, s15, v7
	s_mov_b64 s[22:23], 0
	v_mov_b32_e32 v16, v2
	v_mov_b32_e32 v17, v1
	s_branch .LBB11_185
.LBB11_184:                             ;   in Loop: Header=BB11_185 Depth=3
	s_or_b64 exec, exec, s[24:25]
	v_add_u32_e32 v17, 32, v17
	v_cmp_le_i32_e64 s[12:13], s15, v17
	s_or_b64 s[22:23], s[12:13], s[22:23]
	v_add_u32_e32 v16, 0x2100, v16
	s_andn2_b64 exec, exec, s[22:23]
	s_cbranch_execz .LBB11_176
.LBB11_185:                             ;   Parent Loop BB11_163 Depth=1
                                        ;     Parent Loop BB11_177 Depth=2
                                        ; =>    This Loop Header: Depth=3
                                        ;         Child Loop BB11_187 Depth 4
	s_and_saveexec_b64 s[24:25], vcc
	s_cbranch_execz .LBB11_184
; %bb.186:                              ;   in Loop: Header=BB11_185 Depth=3
	v_mul_lo_u32 v18, v17, s45
	v_add_u32_e32 v18, s41, v18
	s_mov_b64 s[38:39], 0
	v_mov_b32_e32 v19, v16
	v_mov_b32_e32 v20, v4
	;; [unrolled: 1-line block ×3, first 2 shown]
.LBB11_187:                             ;   Parent Loop BB11_163 Depth=1
                                        ;     Parent Loop BB11_177 Depth=2
                                        ;       Parent Loop BB11_185 Depth=3
                                        ; =>      This Inner Loop Header: Depth=4
	ds_read_b64 v[22:23], v20
	ds_read_b64 v[24:25], v18 offset:8
	ds_read_b64 v[26:27], v19
	v_add_u32_e32 v21, 2, v21
	v_cmp_le_i32_e64 s[12:13], s15, v21
	v_add_u32_e32 v20, 16, v20
	s_or_b64 s[38:39], s[12:13], s[38:39]
	s_waitcnt lgkmcnt(0)
	v_fma_f64 v[22:23], -v[22:23], v[24:25], v[26:27]
	ds_write_b64 v19, v[22:23]
	v_add_u32_e32 v19, 16, v19
	s_andn2_b64 exec, exec, s[38:39]
	s_cbranch_execnz .LBB11_187
	s_branch .LBB11_184
.LBB11_188:                             ;   in Loop: Header=BB11_163 Depth=1
	s_and_b64 vcc, exec, s[10:11]
	s_mov_b64 s[12:13], -1
	s_cbranch_vccnz .LBB11_198
; %bb.189:                              ;   in Loop: Header=BB11_163 Depth=1
	s_and_saveexec_b64 s[12:13], s[2:3]
	s_xor_b64 s[12:13], exec, s[12:13]
	s_cbranch_execz .LBB11_191
; %bb.190:                              ;   in Loop: Header=BB11_163 Depth=1
	s_waitcnt lgkmcnt(0)
.LBB11_191:                             ;   in Loop: Header=BB11_163 Depth=1
	s_or_saveexec_b64 s[18:19], s[12:13]
	s_mov_b64 s[12:13], 0
	s_xor_b64 exec, exec, s[18:19]
	s_cbranch_execz .LBB11_200
; %bb.192:                              ;   in Loop: Header=BB11_163 Depth=1
	v_add_u32_e32 v2, s24, v8
	v_add_u32_e32 v4, s24, v3
	s_mul_i32 s12, s24, 0x110
	s_lshl_b32 s40, s24, 3
	v_cmp_gt_i32_e32 vcc, s15, v2
	v_lshl_add_u32 v4, v4, 3, v15
	v_add_u32_e32 v5, s12, v12
	s_mov_b64 s[22:23], 0
	s_addk_i32 s40, 0x2100
	v_mov_b32_e32 v6, v1
	s_branch .LBB11_194
.LBB11_193:                             ;   in Loop: Header=BB11_194 Depth=2
	s_or_b64 exec, exec, s[24:25]
	v_add_u32_e32 v6, 32, v6
	v_cmp_le_i32_e64 s[12:13], s15, v6
	s_or_b64 s[22:23], s[12:13], s[22:23]
	v_add_u32_e32 v4, 0x2100, v4
	s_andn2_b64 exec, exec, s[22:23]
	s_cbranch_execz .LBB11_199
.LBB11_194:                             ;   Parent Loop BB11_163 Depth=1
                                        ; =>  This Loop Header: Depth=2
                                        ;       Child Loop BB11_196 Depth 3
	s_and_saveexec_b64 s[24:25], vcc
	s_cbranch_execz .LBB11_193
; %bb.195:                              ;   in Loop: Header=BB11_194 Depth=2
	v_mul_lo_u32 v7, v6, s45
	v_add_u32_e32 v7, s40, v7
	s_mov_b64 s[38:39], 0
	v_mov_b32_e32 v16, v5
	v_mov_b32_e32 v17, v4
	;; [unrolled: 1-line block ×3, first 2 shown]
.LBB11_196:                             ;   Parent Loop BB11_163 Depth=1
                                        ;     Parent Loop BB11_194 Depth=2
                                        ; =>    This Inner Loop Header: Depth=3
	ds_read_b64 v[20:21], v16
	ds_read_b64 v[22:23], v7
	;; [unrolled: 1-line block ×3, first 2 shown]
	v_add_u32_e32 v18, 2, v18
	v_cmp_le_i32_e64 s[12:13], s15, v18
	s_or_b64 s[38:39], s[12:13], s[38:39]
	v_add_u32_e32 v16, 16, v16
	s_waitcnt lgkmcnt(0)
	v_fma_f64 v[20:21], -v[20:21], v[22:23], v[24:25]
	ds_write_b64 v17, v[20:21]
	v_add_u32_e32 v17, 16, v17
	s_andn2_b64 exec, exec, s[38:39]
	s_cbranch_execnz .LBB11_196
	s_branch .LBB11_193
.LBB11_197:                             ;   in Loop: Header=BB11_163 Depth=1
	s_mov_b64 s[12:13], -1
.LBB11_198:                             ;   in Loop: Header=BB11_163 Depth=1
	s_and_saveexec_b64 s[18:19], s[12:13]
	s_xor_b64 s[12:13], exec, s[18:19]
	s_cbranch_execz .LBB11_162
	s_branch .LBB11_201
.LBB11_199:                             ;   in Loop: Header=BB11_163 Depth=1
	s_or_b64 exec, exec, s[22:23]
	s_mov_b64 s[12:13], exec
.LBB11_200:                             ;   in Loop: Header=BB11_163 Depth=1
	s_or_b64 exec, exec, s[18:19]
	s_and_saveexec_b64 s[18:19], s[12:13]
	s_xor_b64 s[12:13], exec, s[18:19]
	s_cbranch_execz .LBB11_162
.LBB11_201:                             ;   in Loop: Header=BB11_163 Depth=1
	s_waitcnt lgkmcnt(0)
	s_and_saveexec_b64 s[18:19], s[0:1]
	s_cbranch_execz .LBB11_161
; %bb.202:                              ;   in Loop: Header=BB11_163 Depth=1
	s_mul_i32 s46, s33, s15
	s_mov_b64 s[22:23], 0
	v_mov_b32_e32 v16, v10
	v_mov_b32_e32 v17, v9
	;; [unrolled: 1-line block ×3, first 2 shown]
	s_branch .LBB11_204
.LBB11_203:                             ;   in Loop: Header=BB11_204 Depth=2
	s_or_b64 exec, exec, s[24:25]
	v_add_u32_e32 v2, 32, v2
	v_cmp_le_i32_e32 vcc, s15, v2
	v_add_u32_e32 v17, s44, v17
	s_or_b64 s[22:23], vcc, s[22:23]
	v_add_u32_e32 v16, 0x100, v16
	s_andn2_b64 exec, exec, s[22:23]
	s_cbranch_execz .LBB11_161
.LBB11_204:                             ;   Parent Loop BB11_163 Depth=1
                                        ; =>  This Loop Header: Depth=2
                                        ;       Child Loop BB11_207 Depth 3
	s_and_saveexec_b64 s[24:25], s[4:5]
	s_cbranch_execz .LBB11_203
; %bb.205:                              ;   in Loop: Header=BB11_204 Depth=2
	s_mov_b64 s[38:39], 0
	v_mov_b32_e32 v18, v16
	v_mov_b32_e32 v19, v3
	s_branch .LBB11_207
.LBB11_206:                             ;   in Loop: Header=BB11_207 Depth=3
	v_add_u32_e32 v19, 2, v19
	v_ashrrev_i32_e32 v7, 31, v6
	v_cmp_le_i32_e32 vcc, s15, v19
	v_lshl_add_u64 v[6:7], v[6:7], 3, s[20:21]
	s_or_b64 s[38:39], vcc, s[38:39]
	v_add_u32_e32 v18, 0x210, v18
	s_waitcnt lgkmcnt(0)
	global_store_dwordx2 v[6:7], v[4:5], off
	s_andn2_b64 exec, exec, s[38:39]
	s_cbranch_execz .LBB11_203
.LBB11_207:                             ;   Parent Loop BB11_163 Depth=1
                                        ;     Parent Loop BB11_204 Depth=2
                                        ; =>    This Inner Loop Header: Depth=3
	ds_read_b64 v[4:5], v18
	s_and_b64 vcc, exec, s[16:17]
	s_cbranch_vccz .LBB11_209
; %bb.208:                              ;   in Loop: Header=BB11_207 Depth=3
	v_add_u32_e32 v6, s46, v19
	v_mad_u64_u32 v[6:7], s[40:41], v6, s15, v[2:3]
	s_cbranch_execnz .LBB11_206
	s_branch .LBB11_210
.LBB11_209:                             ;   in Loop: Header=BB11_207 Depth=3
                                        ; implicit-def: $vgpr6
.LBB11_210:                             ;   in Loop: Header=BB11_207 Depth=3
	v_add_u32_e32 v6, v17, v19
	s_branch .LBB11_206
.LBB11_211:
	v_and_b32_e32 v0, 0xfffff, v0
	v_cmp_eq_u32_e32 vcc, 0, v0
	s_and_saveexec_b64 s[0:1], vcc
	s_cbranch_execz .LBB11_215
; %bb.212:
	s_add_u32 s0, s28, s34
	s_addc_u32 s1, s29, s35
	v_mov_b32_e32 v0, 0
	v_mov_b32_e32 v1, 1
	s_andn2_b64 vcc, exec, s[36:37]
	buffer_wbl2 sc1
	s_waitcnt vmcnt(0) lgkmcnt(0)
	global_store_dword v0, v1, s[0:1] sc1
	s_cbranch_vccnz .LBB11_215
; %bb.213:
	v_mbcnt_lo_u32_b32 v0, exec_lo, 0
	v_mbcnt_hi_u32_b32 v0, exec_hi, v0
	v_cmp_eq_u32_e32 vcc, 0, v0
	s_and_b64 exec, exec, vcc
	s_cbranch_execz .LBB11_215
; %bb.214:
	s_add_i32 s0, s30, s14
	v_mov_b32_e32 v0, 0
	v_mov_b32_e32 v1, s0
	global_atomic_smin v0, v1, s[26:27]
.LBB11_215:
	s_endpgm
	.section	.rodata,"a",@progbits
	.p2align	6, 0x0
	.amdhsa_kernel _ZN9rocsparseL12bsrilu0_9_32ILj64ELj64ELj32EdEEv20rocsparse_direction_iPKiS3_PT2_S3_iPiS3_S6_21rocsparse_index_base_imNS_24const_host_device_scalarIfEENS8_IdEENS8_IS4_EEb
		.amdhsa_group_segment_fixed_size 16896
		.amdhsa_private_segment_fixed_size 0
		.amdhsa_kernarg_size 116
		.amdhsa_user_sgpr_count 2
		.amdhsa_user_sgpr_dispatch_ptr 0
		.amdhsa_user_sgpr_queue_ptr 0
		.amdhsa_user_sgpr_kernarg_segment_ptr 1
		.amdhsa_user_sgpr_dispatch_id 0
		.amdhsa_user_sgpr_kernarg_preload_length 0
		.amdhsa_user_sgpr_kernarg_preload_offset 0
		.amdhsa_user_sgpr_private_segment_size 0
		.amdhsa_uses_dynamic_stack 0
		.amdhsa_enable_private_segment 0
		.amdhsa_system_sgpr_workgroup_id_x 1
		.amdhsa_system_sgpr_workgroup_id_y 0
		.amdhsa_system_sgpr_workgroup_id_z 0
		.amdhsa_system_sgpr_workgroup_info 0
		.amdhsa_system_vgpr_workitem_id 1
		.amdhsa_next_free_vgpr 129
		.amdhsa_next_free_sgpr 96
		.amdhsa_accum_offset 44
		.amdhsa_reserve_vcc 1
		.amdhsa_float_round_mode_32 0
		.amdhsa_float_round_mode_16_64 0
		.amdhsa_float_denorm_mode_32 3
		.amdhsa_float_denorm_mode_16_64 3
		.amdhsa_dx10_clamp 1
		.amdhsa_ieee_mode 1
		.amdhsa_fp16_overflow 0
		.amdhsa_tg_split 0
		.amdhsa_exception_fp_ieee_invalid_op 0
		.amdhsa_exception_fp_denorm_src 0
		.amdhsa_exception_fp_ieee_div_zero 0
		.amdhsa_exception_fp_ieee_overflow 0
		.amdhsa_exception_fp_ieee_underflow 0
		.amdhsa_exception_fp_ieee_inexact 0
		.amdhsa_exception_int_div_zero 0
	.end_amdhsa_kernel
	.section	.text._ZN9rocsparseL12bsrilu0_9_32ILj64ELj64ELj32EdEEv20rocsparse_direction_iPKiS3_PT2_S3_iPiS3_S6_21rocsparse_index_base_imNS_24const_host_device_scalarIfEENS8_IdEENS8_IS4_EEb,"axG",@progbits,_ZN9rocsparseL12bsrilu0_9_32ILj64ELj64ELj32EdEEv20rocsparse_direction_iPKiS3_PT2_S3_iPiS3_S6_21rocsparse_index_base_imNS_24const_host_device_scalarIfEENS8_IdEENS8_IS4_EEb,comdat
.Lfunc_end11:
	.size	_ZN9rocsparseL12bsrilu0_9_32ILj64ELj64ELj32EdEEv20rocsparse_direction_iPKiS3_PT2_S3_iPiS3_S6_21rocsparse_index_base_imNS_24const_host_device_scalarIfEENS8_IdEENS8_IS4_EEb, .Lfunc_end11-_ZN9rocsparseL12bsrilu0_9_32ILj64ELj64ELj32EdEEv20rocsparse_direction_iPKiS3_PT2_S3_iPiS3_S6_21rocsparse_index_base_imNS_24const_host_device_scalarIfEENS8_IdEENS8_IS4_EEb
                                        ; -- End function
	.set _ZN9rocsparseL12bsrilu0_9_32ILj64ELj64ELj32EdEEv20rocsparse_direction_iPKiS3_PT2_S3_iPiS3_S6_21rocsparse_index_base_imNS_24const_host_device_scalarIfEENS8_IdEENS8_IS4_EEb.num_vgpr, 44
	.set _ZN9rocsparseL12bsrilu0_9_32ILj64ELj64ELj32EdEEv20rocsparse_direction_iPKiS3_PT2_S3_iPiS3_S6_21rocsparse_index_base_imNS_24const_host_device_scalarIfEENS8_IdEENS8_IS4_EEb.num_agpr, 0
	.set _ZN9rocsparseL12bsrilu0_9_32ILj64ELj64ELj32EdEEv20rocsparse_direction_iPKiS3_PT2_S3_iPiS3_S6_21rocsparse_index_base_imNS_24const_host_device_scalarIfEENS8_IdEENS8_IS4_EEb.numbered_sgpr, 68
	.set _ZN9rocsparseL12bsrilu0_9_32ILj64ELj64ELj32EdEEv20rocsparse_direction_iPKiS3_PT2_S3_iPiS3_S6_21rocsparse_index_base_imNS_24const_host_device_scalarIfEENS8_IdEENS8_IS4_EEb.num_named_barrier, 0
	.set _ZN9rocsparseL12bsrilu0_9_32ILj64ELj64ELj32EdEEv20rocsparse_direction_iPKiS3_PT2_S3_iPiS3_S6_21rocsparse_index_base_imNS_24const_host_device_scalarIfEENS8_IdEENS8_IS4_EEb.private_seg_size, 0
	.set _ZN9rocsparseL12bsrilu0_9_32ILj64ELj64ELj32EdEEv20rocsparse_direction_iPKiS3_PT2_S3_iPiS3_S6_21rocsparse_index_base_imNS_24const_host_device_scalarIfEENS8_IdEENS8_IS4_EEb.uses_vcc, 1
	.set _ZN9rocsparseL12bsrilu0_9_32ILj64ELj64ELj32EdEEv20rocsparse_direction_iPKiS3_PT2_S3_iPiS3_S6_21rocsparse_index_base_imNS_24const_host_device_scalarIfEENS8_IdEENS8_IS4_EEb.uses_flat_scratch, 0
	.set _ZN9rocsparseL12bsrilu0_9_32ILj64ELj64ELj32EdEEv20rocsparse_direction_iPKiS3_PT2_S3_iPiS3_S6_21rocsparse_index_base_imNS_24const_host_device_scalarIfEENS8_IdEENS8_IS4_EEb.has_dyn_sized_stack, 0
	.set _ZN9rocsparseL12bsrilu0_9_32ILj64ELj64ELj32EdEEv20rocsparse_direction_iPKiS3_PT2_S3_iPiS3_S6_21rocsparse_index_base_imNS_24const_host_device_scalarIfEENS8_IdEENS8_IS4_EEb.has_recursion, 0
	.set _ZN9rocsparseL12bsrilu0_9_32ILj64ELj64ELj32EdEEv20rocsparse_direction_iPKiS3_PT2_S3_iPiS3_S6_21rocsparse_index_base_imNS_24const_host_device_scalarIfEENS8_IdEENS8_IS4_EEb.has_indirect_call, 0
	.section	.AMDGPU.csdata,"",@progbits
; Kernel info:
; codeLenInByte = 5912
; TotalNumSgprs: 74
; NumVgprs: 44
; NumAgprs: 0
; TotalNumVgprs: 44
; ScratchSize: 0
; MemoryBound: 0
; FloatMode: 240
; IeeeMode: 1
; LDSByteSize: 16896 bytes/workgroup (compile time only)
; SGPRBlocks: 12
; VGPRBlocks: 16
; NumSGPRsForWavesPerEU: 102
; NumVGPRsForWavesPerEU: 129
; AccumOffset: 44
; Occupancy: 3
; WaveLimiterHint : 1
; COMPUTE_PGM_RSRC2:SCRATCH_EN: 0
; COMPUTE_PGM_RSRC2:USER_SGPR: 2
; COMPUTE_PGM_RSRC2:TRAP_HANDLER: 0
; COMPUTE_PGM_RSRC2:TGID_X_EN: 1
; COMPUTE_PGM_RSRC2:TGID_Y_EN: 0
; COMPUTE_PGM_RSRC2:TGID_Z_EN: 0
; COMPUTE_PGM_RSRC2:TIDIG_COMP_CNT: 1
; COMPUTE_PGM_RSRC3_GFX90A:ACCUM_OFFSET: 10
; COMPUTE_PGM_RSRC3_GFX90A:TG_SPLIT: 0
	.section	.text._ZN9rocsparseL13bsrilu0_33_64ILj64ELj64ELj64EdEEv20rocsparse_direction_iPKiS3_PT2_S3_iPiS3_S6_21rocsparse_index_base_imNS_24const_host_device_scalarIfEENS8_IdEENS8_IS4_EEb,"axG",@progbits,_ZN9rocsparseL13bsrilu0_33_64ILj64ELj64ELj64EdEEv20rocsparse_direction_iPKiS3_PT2_S3_iPiS3_S6_21rocsparse_index_base_imNS_24const_host_device_scalarIfEENS8_IdEENS8_IS4_EEb,comdat
	.globl	_ZN9rocsparseL13bsrilu0_33_64ILj64ELj64ELj64EdEEv20rocsparse_direction_iPKiS3_PT2_S3_iPiS3_S6_21rocsparse_index_base_imNS_24const_host_device_scalarIfEENS8_IdEENS8_IS4_EEb ; -- Begin function _ZN9rocsparseL13bsrilu0_33_64ILj64ELj64ELj64EdEEv20rocsparse_direction_iPKiS3_PT2_S3_iPiS3_S6_21rocsparse_index_base_imNS_24const_host_device_scalarIfEENS8_IdEENS8_IS4_EEb
	.p2align	8
	.type	_ZN9rocsparseL13bsrilu0_33_64ILj64ELj64ELj64EdEEv20rocsparse_direction_iPKiS3_PT2_S3_iPiS3_S6_21rocsparse_index_base_imNS_24const_host_device_scalarIfEENS8_IdEENS8_IS4_EEb,@function
_ZN9rocsparseL13bsrilu0_33_64ILj64ELj64ELj64EdEEv20rocsparse_direction_iPKiS3_PT2_S3_iPiS3_S6_21rocsparse_index_base_imNS_24const_host_device_scalarIfEENS8_IdEENS8_IS4_EEb: ; @_ZN9rocsparseL13bsrilu0_33_64ILj64ELj64ELj64EdEEv20rocsparse_direction_iPKiS3_PT2_S3_iPiS3_S6_21rocsparse_index_base_imNS_24const_host_device_scalarIfEENS8_IdEENS8_IS4_EEb
; %bb.0:
	s_load_dword s3, s[0:1], 0x70
	s_load_dwordx2 s[18:19], s[0:1], 0x48
	s_load_dwordx8 s[36:43], s[0:1], 0x50
	s_waitcnt lgkmcnt(0)
	s_bitcmp1_b32 s3, 0
	s_cselect_b64 s[4:5], -1, 0
	s_cmp_eq_u32 s19, 0
	s_cselect_b64 s[6:7], -1, 0
	s_cmp_lg_u32 s19, 0
	s_cselect_b64 s[46:47], -1, 0
	s_or_b64 s[4:5], s[6:7], s[4:5]
	s_xor_b64 s[8:9], s[4:5], -1
	s_and_b64 s[10:11], s[6:7], exec
	s_cselect_b32 s11, 0, s41
	s_cselect_b32 s10, 0, s40
	s_and_b64 vcc, exec, s[4:5]
	s_cbranch_vccnz .LBB12_2
; %bb.1:
	s_load_dword s3, s[38:39], 0x0
	s_mov_b64 s[10:11], s[40:41]
	s_waitcnt lgkmcnt(0)
	v_mov_b32_e32 v1, s3
	s_branch .LBB12_3
.LBB12_2:
	v_mov_b32_e32 v1, s38
	v_cndmask_b32_e64 v1, v1, 0, s[6:7]
.LBB12_3:
	v_cndmask_b32_e64 v2, 0, 1, s[8:9]
	v_cmp_ne_u32_e64 s[4:5], 1, v2
	s_andn2_b64 vcc, exec, s[8:9]
	v_mov_b64_e32 v[4:5], s[10:11]
	s_cbranch_vccnz .LBB12_5
; %bb.4:
	v_mov_b64_e32 v[2:3], s[40:41]
	flat_load_dwordx2 v[4:5], v[2:3]
.LBB12_5:
	s_and_b64 s[6:7], s[6:7], exec
	s_cselect_b32 s7, 0, s43
	s_cselect_b32 s6, 0, s42
	s_mov_b32 s3, 0
	s_and_b64 vcc, exec, s[4:5]
	v_mov_b64_e32 v[2:3], s[6:7]
	s_cbranch_vccnz .LBB12_7
; %bb.6:
	v_mov_b64_e32 v[2:3], s[42:43]
	flat_load_dwordx2 v[2:3], v[2:3]
.LBB12_7:
	s_load_dwordx4 s[28:31], s[0:1], 0x30
	s_load_dwordx2 s[34:35], s[0:1], 0x40
	s_lshl_b64 s[2:3], s[2:3], 2
	s_waitcnt lgkmcnt(0)
	s_add_u32 s2, s30, s2
	s_addc_u32 s3, s31, s3
	s_load_dword s30, s[2:3], 0x0
	s_load_dwordx8 s[20:27], s[0:1], 0x8
	s_waitcnt lgkmcnt(0)
	s_ashr_i32 s31, s30, 31
	s_lshl_b64 s[38:39], s[30:31], 2
	s_add_u32 s2, s26, s38
	s_addc_u32 s3, s27, s39
	s_load_dword s42, s[2:3], 0x0
	s_waitcnt lgkmcnt(0)
	s_cmp_eq_u32 s42, -1
	s_cbranch_scc1 .LBB12_100
; %bb.8:
	s_add_u32 s2, s20, s38
	s_addc_u32 s3, s21, s39
	s_load_dwordx2 s[4:5], s[2:3], 0x0
	s_load_dwordx2 s[44:45], s[0:1], 0x0
	s_load_dword s19, s[0:1], 0x28
	s_mov_b64 s[40:41], 0
	s_waitcnt lgkmcnt(0)
	s_sub_i32 s48, s4, s18
	s_sub_i32 s31, s5, s18
	s_cmp_ge_i32 s48, s42
	s_cbranch_scc1 .LBB12_89
; %bb.9:
	v_and_b32_e32 v22, 0x3ff, v0
	s_cmp_lg_u32 s44, 0
	v_bfe_u32 v23, v0, 10, 10
	s_cselect_b64 s[50:51], -1, 0
	s_cmp_gt_i32 s19, 0
	s_movk_i32 s12, 0x208
	v_lshlrev_b32_e32 v10, 3, v22
	s_mul_i32 s13, s19, s48
	s_cselect_b64 s[10:11], -1, 0
	v_lshl_or_b32 v6, v23, 6, v22
	v_mad_u32_u24 v25, v23, s12, v10
	v_add_u32_e32 v10, s13, v22
	v_add_u32_e32 v6, s48, v6
	v_mul_lo_u32 v26, s19, v10
	v_cndmask_b32_e64 v10, 0, 1, s[10:11]
	v_add_u32_e32 v24, 1, v23
	v_ashrrev_i32_e32 v7, 31, v6
	v_cmp_ne_u32_e64 s[10:11], 1, v10
	v_mbcnt_lo_u32_b32 v10, -1, 0
	v_cmp_gt_i32_e64 s[0:1], s19, v22
	v_cmp_le_i32_e64 s[2:3], s19, v22
	v_cmp_gt_i32_e64 s[4:5], s19, v23
	v_cmp_eq_u32_e64 s[6:7], 0, v23
	v_cmp_gt_i32_e64 s[8:9], s31, v6
	s_add_i32 s33, s45, 1
	v_lshl_add_u64 v[8:9], v[6:7], 2, s[22:23]
	s_lshl_b32 s43, s19, 6
	v_mul_u32_u24_e32 v7, 0x208, v23
	v_add_u32_e32 v27, v24, v26
	s_mul_i32 s45, s19, s19
	v_mad_u32_u24 v28, v23, s12, s12
	v_mov_b32_e32 v29, 0
	v_cndmask_b32_e64 v30, 0, 1, s[50:51]
	v_mbcnt_hi_u32_b32 v31, -1, v10
	s_branch .LBB12_12
.LBB12_10:                              ;   in Loop: Header=BB12_12 Depth=1
	s_mov_b64 s[40:41], -1
.LBB12_11:                              ;   in Loop: Header=BB12_12 Depth=1
	s_add_i32 s48, s48, 1
	s_cmp_lt_i32 s48, s42
	s_cselect_b64 s[14:15], -1, 0
	s_and_b64 s[12:13], s[12:13], s[14:15]
	v_add_u32_e32 v27, s45, v27
	v_add_u32_e32 v26, s45, v26
	s_and_b64 vcc, exec, s[12:13]
	s_cbranch_vccz .LBB12_89
.LBB12_12:                              ; =>This Loop Header: Depth=1
                                        ;     Child Loop BB12_14 Depth 2
                                        ;     Child Loop BB12_18 Depth 2
                                        ;       Child Loop BB12_21 Depth 3
                                        ;     Child Loop BB12_28 Depth 2
                                        ;       Child Loop BB12_31 Depth 3
                                        ;         Child Loop BB12_42 Depth 4
                                        ;     Child Loop BB12_53 Depth 2
                                        ;       Child Loop BB12_58 Depth 3
                                        ;       Child Loop BB12_67 Depth 3
                                        ;         Child Loop BB12_70 Depth 4
                                        ;       Child Loop BB12_76 Depth 3
                                        ;         Child Loop BB12_79 Depth 4
                                        ;           Child Loop BB12_81 Depth 5
	s_ashr_i32 s49, s48, 31
	s_lshl_b64 s[12:13], s[48:49], 2
	s_add_u32 s12, s22, s12
	s_addc_u32 s13, s23, s13
	global_load_dword v10, v29, s[12:13]
	s_waitcnt vmcnt(0)
	v_readfirstlane_b32 s12, v10
	s_sub_i32 s12, s12, s18
	s_ashr_i32 s13, s12, 31
	s_lshl_b64 s[14:15], s[12:13], 2
	s_add_u32 s12, s26, s14
	s_addc_u32 s13, s27, s15
	global_load_dword v10, v29, s[12:13]
	s_waitcnt vmcnt(0)
	v_cmp_eq_u32_e32 vcc, -1, v10
	v_readfirstlane_b32 s61, v10
	v_cmp_ne_u32_e64 s[12:13], -1, v10
	s_cbranch_vccnz .LBB12_10
; %bb.13:                               ;   in Loop: Header=BB12_12 Depth=1
	s_add_u32 s16, s20, s14
	s_addc_u32 s17, s21, s15
	global_load_dword v10, v29, s[16:17] offset:4
	s_add_u32 s14, s28, s14
	s_addc_u32 s15, s29, s15
	s_waitcnt vmcnt(0)
	v_readfirstlane_b32 s60, v10
.LBB12_14:                              ;   Parent Loop BB12_12 Depth=1
                                        ; =>  This Inner Loop Header: Depth=2
	global_load_dword v10, v29, s[14:15] sc1
	s_waitcnt vmcnt(0)
	v_cmp_eq_u32_e32 vcc, 0, v10
	s_cbranch_vccnz .LBB12_14
; %bb.15:                               ;   in Loop: Header=BB12_12 Depth=1
	buffer_inv sc1
	s_and_saveexec_b64 s[14:15], s[0:1]
	s_cbranch_execz .LBB12_25
; %bb.16:                               ;   in Loop: Header=BB12_12 Depth=1
	s_mul_i32 s49, s61, s19
	v_add_u32_e32 v10, s49, v22
	s_waitcnt lgkmcnt(0)
	v_mul_lo_u32 v11, s19, v10
	s_mov_b64 s[16:17], 0
	v_mov_b32_e32 v14, v25
	v_mov_b32_e32 v10, v22
	s_branch .LBB12_18
.LBB12_17:                              ;   in Loop: Header=BB12_18 Depth=2
	s_or_b64 exec, exec, s[52:53]
	v_add_u32_e32 v10, 64, v10
	v_cmp_le_i32_e32 vcc, s19, v10
	v_add_u32_e32 v11, s43, v11
	s_or_b64 s[16:17], vcc, s[16:17]
	v_add_u32_e32 v14, 0x200, v14
	s_andn2_b64 exec, exec, s[16:17]
	s_cbranch_execz .LBB12_25
.LBB12_18:                              ;   Parent Loop BB12_12 Depth=1
                                        ; =>  This Loop Header: Depth=2
                                        ;       Child Loop BB12_21 Depth 3
	s_and_saveexec_b64 s[52:53], s[4:5]
	s_cbranch_execz .LBB12_17
; %bb.19:                               ;   in Loop: Header=BB12_18 Depth=2
	s_mov_b64 s[54:55], 0
	v_mov_b32_e32 v15, v14
	v_mov_b32_e32 v16, v23
	s_branch .LBB12_21
.LBB12_20:                              ;   in Loop: Header=BB12_21 Depth=3
	v_ashrrev_i32_e32 v13, 31, v12
	v_lshl_add_u64 v[12:13], v[12:13], 3, s[24:25]
	global_load_dwordx2 v[12:13], v[12:13], off
	v_add_u32_e32 v16, 1, v16
	v_cmp_le_i32_e32 vcc, s19, v16
	s_or_b64 s[54:55], vcc, s[54:55]
	s_waitcnt vmcnt(0)
	ds_write_b64 v15, v[12:13]
	v_add_u32_e32 v15, 0x208, v15
	s_andn2_b64 exec, exec, s[54:55]
	s_cbranch_execz .LBB12_17
.LBB12_21:                              ;   Parent Loop BB12_12 Depth=1
                                        ;     Parent Loop BB12_18 Depth=2
                                        ; =>    This Inner Loop Header: Depth=3
	s_and_b64 vcc, exec, s[50:51]
	s_cbranch_vccz .LBB12_23
; %bb.22:                               ;   in Loop: Header=BB12_21 Depth=3
	v_add_u32_e32 v12, s49, v16
	v_mad_u64_u32 v[12:13], s[56:57], v12, s19, v[10:11]
	s_cbranch_execnz .LBB12_20
	s_branch .LBB12_24
.LBB12_23:                              ;   in Loop: Header=BB12_21 Depth=3
                                        ; implicit-def: $vgpr12
.LBB12_24:                              ;   in Loop: Header=BB12_21 Depth=3
	v_add_u32_e32 v12, v11, v16
	s_branch .LBB12_20
.LBB12_25:                              ;   in Loop: Header=BB12_12 Depth=1
	s_or_b64 exec, exec, s[14:15]
	s_and_b64 vcc, exec, s[10:11]
	s_mul_i32 s49, s48, s19
	s_waitcnt lgkmcnt(0)
	s_cbranch_vccnz .LBB12_48
; %bb.26:                               ;   in Loop: Header=BB12_12 Depth=1
	s_mov_b32 s62, 0
	v_mov_b32_e32 v13, v28
	v_mov_b32_e32 v32, v27
	s_branch .LBB12_28
.LBB12_27:                              ;   in Loop: Header=BB12_28 Depth=2
	s_or_b64 exec, exec, s[52:53]
	s_add_i32 s62, s62, 1
	v_add_u32_e32 v32, 1, v32
	s_cmp_eq_u32 s62, s19
	v_add_u32_e32 v13, 0x210, v13
	s_cbranch_scc1 .LBB12_48
.LBB12_28:                              ;   Parent Loop BB12_12 Depth=1
                                        ; =>  This Loop Header: Depth=2
                                        ;       Child Loop BB12_31 Depth 3
                                        ;         Child Loop BB12_42 Depth 4
	s_and_saveexec_b64 s[52:53], s[0:1]
	s_cbranch_execz .LBB12_27
; %bb.29:                               ;   in Loop: Header=BB12_28 Depth=2
	s_mul_i32 s14, s62, 0x208
	s_lshl_b32 s15, s62, 3
	s_add_i32 s14, s14, s15
	v_mov_b32_e32 v10, s14
	ds_read_b64 v[10:11], v10
	s_add_i32 s63, s62, s49
	v_add_u32_e32 v33, s62, v24
	s_mul_i32 s63, s63, s19
	v_cmp_gt_i32_e64 s[14:15], s19, v33
	s_mov_b64 s[54:55], 0
	v_mov_b32_e32 v34, v32
	v_mov_b32_e32 v12, v22
	s_branch .LBB12_31
.LBB12_30:                              ;   in Loop: Header=BB12_31 Depth=3
	s_or_b64 exec, exec, s[56:57]
	v_add_u32_e32 v12, 64, v12
	v_cmp_le_i32_e32 vcc, s19, v12
	s_or_b64 s[54:55], vcc, s[54:55]
	v_add_u32_e32 v34, s43, v34
	s_andn2_b64 exec, exec, s[54:55]
	s_cbranch_execz .LBB12_27
.LBB12_31:                              ;   Parent Loop BB12_12 Depth=1
                                        ;     Parent Loop BB12_28 Depth=2
                                        ; =>    This Loop Header: Depth=3
                                        ;         Child Loop BB12_42 Depth 4
	s_and_b64 vcc, exec, s[50:51]
	s_cbranch_vccz .LBB12_46
; %bb.32:                               ;   in Loop: Header=BB12_31 Depth=3
	v_add_u32_e32 v14, s63, v12
	s_cbranch_execnz .LBB12_34
.LBB12_33:                              ;   in Loop: Header=BB12_31 Depth=3
	v_add_u32_e32 v14, s49, v12
	v_mul_lo_u32 v14, v14, s19
	v_add_u32_e32 v14, s62, v14
.LBB12_34:                              ;   in Loop: Header=BB12_31 Depth=3
	v_ashrrev_i32_e32 v15, 31, v14
	v_lshl_add_u64 v[14:15], v[14:15], 3, s[24:25]
	global_load_dwordx2 v[14:15], v[14:15], off
	s_waitcnt vmcnt(0) lgkmcnt(0)
	v_div_scale_f64 v[16:17], s[16:17], v[10:11], v[10:11], v[14:15]
	v_rcp_f64_e32 v[18:19], v[16:17]
	v_div_scale_f64 v[20:21], vcc, v[14:15], v[10:11], v[14:15]
	v_fma_f64 v[36:37], -v[16:17], v[18:19], 1.0
	v_fmac_f64_e32 v[18:19], v[18:19], v[36:37]
	v_fma_f64 v[36:37], -v[16:17], v[18:19], 1.0
	v_fmac_f64_e32 v[18:19], v[18:19], v[36:37]
	v_mul_f64 v[36:37], v[20:21], v[18:19]
	v_fma_f64 v[16:17], -v[16:17], v[36:37], v[20:21]
	v_div_fmas_f64 v[16:17], v[16:17], v[18:19], v[36:37]
	v_div_fixup_f64 v[14:15], v[16:17], v[10:11], v[14:15]
	s_and_saveexec_b64 s[16:17], s[6:7]
	s_cbranch_execz .LBB12_39
; %bb.35:                               ;   in Loop: Header=BB12_31 Depth=3
	s_and_b64 vcc, exec, s[50:51]
	s_cbranch_vccz .LBB12_47
; %bb.36:                               ;   in Loop: Header=BB12_31 Depth=3
	v_add_u32_e32 v16, s63, v12
	s_cbranch_execnz .LBB12_38
.LBB12_37:                              ;   in Loop: Header=BB12_31 Depth=3
	v_add_u32_e32 v16, s49, v12
	v_mul_lo_u32 v16, v16, s19
	v_add_u32_e32 v16, s62, v16
.LBB12_38:                              ;   in Loop: Header=BB12_31 Depth=3
	v_ashrrev_i32_e32 v17, 31, v16
	v_lshl_add_u64 v[16:17], v[16:17], 3, s[24:25]
	global_store_dwordx2 v[16:17], v[14:15], off
.LBB12_39:                              ;   in Loop: Header=BB12_31 Depth=3
	s_or_b64 exec, exec, s[16:17]
	s_and_saveexec_b64 s[56:57], s[14:15]
	s_cbranch_execz .LBB12_30
; %bb.40:                               ;   in Loop: Header=BB12_31 Depth=3
	s_mov_b64 s[58:59], 0
	v_mov_b32_e32 v35, v13
	v_mov_b32_e32 v36, v34
	v_mov_b32_e32 v37, v33
	s_branch .LBB12_42
.LBB12_41:                              ;   in Loop: Header=BB12_42 Depth=4
	v_add_u32_e32 v37, 1, v37
	v_ashrrev_i32_e32 v19, 31, v18
	v_cmp_le_i32_e32 vcc, s19, v37
	s_waitcnt vmcnt(0) lgkmcnt(0)
	v_fma_f64 v[16:17], -v[14:15], v[16:17], v[20:21]
	v_lshl_add_u64 v[18:19], v[18:19], 3, s[24:25]
	v_add_u32_e32 v36, 1, v36
	s_or_b64 s[58:59], vcc, s[58:59]
	v_add_u32_e32 v35, 0x208, v35
	global_store_dwordx2 v[18:19], v[16:17], off
	s_andn2_b64 exec, exec, s[58:59]
	s_cbranch_execz .LBB12_30
.LBB12_42:                              ;   Parent Loop BB12_12 Depth=1
                                        ;     Parent Loop BB12_28 Depth=2
                                        ;       Parent Loop BB12_31 Depth=3
                                        ; =>      This Inner Loop Header: Depth=4
	ds_read_b64 v[16:17], v35
	v_cmp_ne_u32_e64 s[16:17], 1, v30
	s_andn2_b64 vcc, exec, s[50:51]
	v_add_u32_e32 v38, s49, v37
	v_mov_b32_e32 v18, v36
	s_cbranch_vccnz .LBB12_44
; %bb.43:                               ;   in Loop: Header=BB12_42 Depth=4
	v_mad_u64_u32 v[18:19], s[64:65], v38, s19, v[12:13]
.LBB12_44:                              ;   in Loop: Header=BB12_42 Depth=4
	v_ashrrev_i32_e32 v19, 31, v18
	v_lshl_add_u64 v[18:19], v[18:19], 3, s[24:25]
	global_load_dwordx2 v[20:21], v[18:19], off
	s_and_b64 vcc, exec, s[16:17]
	v_mov_b32_e32 v18, v36
	s_cbranch_vccnz .LBB12_41
; %bb.45:                               ;   in Loop: Header=BB12_42 Depth=4
	v_mad_u64_u32 v[18:19], s[16:17], v38, s19, v[12:13]
	s_branch .LBB12_41
.LBB12_46:                              ;   in Loop: Header=BB12_31 Depth=3
                                        ; implicit-def: $vgpr14
	s_branch .LBB12_33
.LBB12_47:                              ;   in Loop: Header=BB12_31 Depth=3
                                        ; implicit-def: $vgpr16
	s_branch .LBB12_37
.LBB12_48:                              ;   in Loop: Header=BB12_12 Depth=1
	s_sub_i32 s60, s60, s18
	s_add_i32 s14, s61, 1
	s_cmp_ge_i32 s14, s60
	s_cbranch_scc1 .LBB12_11
; %bb.49:                               ;   in Loop: Header=BB12_12 Depth=1
	s_mul_i32 s15, s19, s14
	v_add_u32_e32 v10, s15, v22
	v_mul_lo_u32 v16, s19, v10
	s_branch .LBB12_53
.LBB12_50:                              ;   in Loop: Header=BB12_53 Depth=2
	s_or_b64 exec, exec, s[52:53]
.LBB12_51:                              ;   in Loop: Header=BB12_53 Depth=2
	s_or_b64 exec, exec, s[16:17]
.LBB12_52:                              ;   in Loop: Header=BB12_53 Depth=2
	s_add_i32 s14, s14, 1
	s_cmp_lt_i32 s14, s60
	v_add_u32_e32 v16, s45, v16
	s_cbranch_scc0 .LBB12_11
.LBB12_53:                              ;   Parent Loop BB12_12 Depth=1
                                        ; =>  This Loop Header: Depth=2
                                        ;       Child Loop BB12_58 Depth 3
                                        ;       Child Loop BB12_67 Depth 3
                                        ;         Child Loop BB12_70 Depth 4
                                        ;       Child Loop BB12_76 Depth 3
                                        ;         Child Loop BB12_79 Depth 4
                                        ;           Child Loop BB12_81 Depth 5
	s_ashr_i32 s15, s14, 31
	s_lshl_b64 s[16:17], s[14:15], 2
	s_add_u32 s16, s22, s16
	s_addc_u32 s17, s23, s17
	global_load_dword v10, v29, s[16:17]
	s_waitcnt lgkmcnt(0)
	v_mov_b32_e32 v11, s33
	s_and_saveexec_b64 s[16:17], s[8:9]
	s_cbranch_execz .LBB12_55
; %bb.54:                               ;   in Loop: Header=BB12_53 Depth=2
	global_load_dword v11, v[8:9], off
	s_waitcnt vmcnt(0)
	v_subrev_u32_e32 v11, s18, v11
.LBB12_55:                              ;   in Loop: Header=BB12_53 Depth=2
	s_or_b64 exec, exec, s[16:17]
	s_waitcnt vmcnt(0)
	v_subrev_u32_e32 v12, s18, v10
	v_cmp_lt_i32_e32 vcc, v11, v12
	v_mov_b32_e32 v13, v6
	s_and_saveexec_b64 s[16:17], vcc
	s_cbranch_execz .LBB12_61
; %bb.56:                               ;   in Loop: Header=BB12_53 Depth=2
	s_mov_b64 s[52:53], 0
	v_mov_b32_e32 v10, v6
	s_branch .LBB12_58
.LBB12_57:                              ;   in Loop: Header=BB12_58 Depth=3
	s_or_b64 exec, exec, s[54:55]
	v_cmp_ge_i32_e32 vcc, v11, v12
	s_or_b64 s[52:53], vcc, s[52:53]
	v_mov_b32_e32 v10, v13
	s_andn2_b64 exec, exec, s[52:53]
	s_cbranch_execz .LBB12_60
.LBB12_58:                              ;   Parent Loop BB12_12 Depth=1
                                        ;     Parent Loop BB12_53 Depth=2
                                        ; =>    This Inner Loop Header: Depth=3
	v_add_u32_e32 v13, 64, v10
	v_cmp_gt_i32_e32 vcc, s31, v13
	v_mov_b32_e32 v11, s33
	s_and_saveexec_b64 s[54:55], vcc
	s_cbranch_execz .LBB12_57
; %bb.59:                               ;   in Loop: Header=BB12_58 Depth=3
	v_ashrrev_i32_e32 v11, 31, v10
	v_lshl_add_u64 v[10:11], v[10:11], 2, s[22:23]
	global_load_dword v10, v[10:11], off offset:256
	s_waitcnt vmcnt(0)
	v_subrev_u32_e32 v11, s18, v10
	s_branch .LBB12_57
.LBB12_60:                              ;   in Loop: Header=BB12_53 Depth=2
	s_or_b64 exec, exec, s[52:53]
.LBB12_61:                              ;   in Loop: Header=BB12_53 Depth=2
	s_or_b64 exec, exec, s[16:17]
	v_cmp_eq_u32_e32 vcc, v11, v12
	s_cbranch_vccz .LBB12_52
; %bb.62:                               ;   in Loop: Header=BB12_53 Depth=2
	s_ff1_i32_b64 s15, vcc
	v_and_or_b32 v10, v31, 64, s15
	v_lshlrev_b32_e32 v10, 2, v10
	ds_bpermute_b32 v11, v10, v13
	s_and_saveexec_b64 s[16:17], s[2:3]
	s_xor_b64 s[16:17], exec, s[16:17]
	s_cbranch_execz .LBB12_64
; %bb.63:                               ;   in Loop: Header=BB12_53 Depth=2
	s_waitcnt lgkmcnt(0)
                                        ; implicit-def: $vgpr11
.LBB12_64:                              ;   in Loop: Header=BB12_53 Depth=2
	s_andn2_saveexec_b64 s[16:17], s[16:17]
	s_cbranch_execz .LBB12_51
; %bb.65:                               ;   in Loop: Header=BB12_53 Depth=2
	s_mul_i32 s15, s14, s19
	s_mov_b64 s[52:53], 0
	v_mov_b32_e32 v14, v25
	v_mov_b32_e32 v15, v16
	;; [unrolled: 1-line block ×3, first 2 shown]
	s_branch .LBB12_67
.LBB12_66:                              ;   in Loop: Header=BB12_67 Depth=3
	s_or_b64 exec, exec, s[54:55]
	v_add_u32_e32 v10, 64, v10
	v_cmp_le_i32_e32 vcc, s19, v10
	v_add_u32_e32 v15, s43, v15
	s_or_b64 s[52:53], vcc, s[52:53]
	v_add_u32_e32 v14, 0x200, v14
	s_andn2_b64 exec, exec, s[52:53]
	s_cbranch_execz .LBB12_74
.LBB12_67:                              ;   Parent Loop BB12_12 Depth=1
                                        ;     Parent Loop BB12_53 Depth=2
                                        ; =>    This Loop Header: Depth=3
                                        ;         Child Loop BB12_70 Depth 4
	s_and_saveexec_b64 s[54:55], s[4:5]
	s_cbranch_execz .LBB12_66
; %bb.68:                               ;   in Loop: Header=BB12_67 Depth=3
	s_mov_b64 s[56:57], 0
	v_mov_b32_e32 v17, v14
	v_mov_b32_e32 v18, v23
	s_branch .LBB12_70
.LBB12_69:                              ;   in Loop: Header=BB12_70 Depth=4
	v_ashrrev_i32_e32 v13, 31, v12
	v_lshl_add_u64 v[12:13], v[12:13], 3, s[24:25]
	global_load_dwordx2 v[12:13], v[12:13], off
	v_add_u32_e32 v18, 1, v18
	v_cmp_le_i32_e32 vcc, s19, v18
	s_or_b64 s[56:57], vcc, s[56:57]
	s_waitcnt vmcnt(0)
	ds_write_b64 v17, v[12:13]
	v_add_u32_e32 v17, 0x208, v17
	s_andn2_b64 exec, exec, s[56:57]
	s_cbranch_execz .LBB12_66
.LBB12_70:                              ;   Parent Loop BB12_12 Depth=1
                                        ;     Parent Loop BB12_53 Depth=2
                                        ;       Parent Loop BB12_67 Depth=3
                                        ; =>      This Inner Loop Header: Depth=4
	s_and_b64 vcc, exec, s[50:51]
	s_cbranch_vccz .LBB12_72
; %bb.71:                               ;   in Loop: Header=BB12_70 Depth=4
	v_add_u32_e32 v12, s15, v18
	s_waitcnt lgkmcnt(0)
	v_mad_u64_u32 v[12:13], s[58:59], v12, s19, v[10:11]
	s_cbranch_execnz .LBB12_69
	s_branch .LBB12_73
.LBB12_72:                              ;   in Loop: Header=BB12_70 Depth=4
                                        ; implicit-def: $vgpr12
.LBB12_73:                              ;   in Loop: Header=BB12_70 Depth=4
	v_add_u32_e32 v12, v15, v18
	s_branch .LBB12_69
.LBB12_74:                              ;   in Loop: Header=BB12_53 Depth=2
	s_or_b64 exec, exec, s[52:53]
	s_waitcnt lgkmcnt(0)
	v_mul_lo_u32 v11, v11, s19
	s_mov_b64 s[52:53], 0
	v_mov_b32_e32 v17, v26
	v_mov_b32_e32 v10, v22
	s_branch .LBB12_76
.LBB12_75:                              ;   in Loop: Header=BB12_76 Depth=3
	s_or_b64 exec, exec, s[54:55]
	v_add_u32_e32 v10, 64, v10
	v_cmp_le_i32_e32 vcc, s19, v10
	s_or_b64 s[52:53], vcc, s[52:53]
	v_add_u32_e32 v17, s43, v17
	s_andn2_b64 exec, exec, s[52:53]
	s_cbranch_execz .LBB12_50
.LBB12_76:                              ;   Parent Loop BB12_12 Depth=1
                                        ;     Parent Loop BB12_53 Depth=2
                                        ; =>    This Loop Header: Depth=3
                                        ;         Child Loop BB12_79 Depth 4
                                        ;           Child Loop BB12_81 Depth 5
	s_and_saveexec_b64 s[54:55], s[4:5]
	s_cbranch_execz .LBB12_75
; %bb.77:                               ;   in Loop: Header=BB12_76 Depth=3
	v_add_u32_e32 v12, v10, v11
	v_mul_lo_u32 v18, v12, s19
	s_mov_b64 s[56:57], 0
	v_mov_b32_e32 v19, v7
	v_mov_b32_e32 v20, v23
	s_branch .LBB12_79
.LBB12_78:                              ;   in Loop: Header=BB12_79 Depth=4
	v_ashrrev_i32_e32 v15, 31, v14
	v_lshl_add_u64 v[14:15], v[14:15], 3, s[24:25]
	global_load_dwordx2 v[32:33], v[14:15], off
	v_add_u32_e32 v20, 1, v20
	v_cmp_le_i32_e32 vcc, s19, v20
	s_or_b64 s[56:57], vcc, s[56:57]
	v_add_u32_e32 v19, 0x208, v19
	s_waitcnt vmcnt(0)
	v_add_f64 v[12:13], v[32:33], -v[12:13]
	global_store_dwordx2 v[14:15], v[12:13], off
	s_andn2_b64 exec, exec, s[56:57]
	s_cbranch_execz .LBB12_75
.LBB12_79:                              ;   Parent Loop BB12_12 Depth=1
                                        ;     Parent Loop BB12_53 Depth=2
                                        ;       Parent Loop BB12_76 Depth=3
                                        ; =>      This Loop Header: Depth=4
                                        ;           Child Loop BB12_81 Depth 5
	v_mov_b64_e32 v[12:13], 0
	s_mov_b32 s15, 0
	v_mov_b32_e32 v21, v19
	s_branch .LBB12_81
.LBB12_80:                              ;   in Loop: Header=BB12_81 Depth=5
	v_ashrrev_i32_e32 v15, 31, v14
	v_lshl_add_u64 v[14:15], v[14:15], 3, s[24:25]
	global_load_dwordx2 v[14:15], v[14:15], off
	ds_read_b64 v[32:33], v21
	s_add_i32 s15, s15, 1
	s_cmp_eq_u32 s19, s15
	v_add_u32_e32 v21, 8, v21
	s_waitcnt vmcnt(0) lgkmcnt(0)
	v_fmac_f64_e32 v[12:13], v[14:15], v[32:33]
	s_cbranch_scc1 .LBB12_85
.LBB12_81:                              ;   Parent Loop BB12_12 Depth=1
                                        ;     Parent Loop BB12_53 Depth=2
                                        ;       Parent Loop BB12_76 Depth=3
                                        ;         Parent Loop BB12_79 Depth=4
                                        ; =>        This Inner Loop Header: Depth=5
	s_and_b64 vcc, exec, s[50:51]
	s_cbranch_vccz .LBB12_83
; %bb.82:                               ;   in Loop: Header=BB12_81 Depth=5
	s_add_i32 s58, s15, s49
	s_mul_i32 s58, s58, s19
	v_add_u32_e32 v14, s58, v10
	s_cbranch_execnz .LBB12_80
	s_branch .LBB12_84
.LBB12_83:                              ;   in Loop: Header=BB12_81 Depth=5
                                        ; implicit-def: $vgpr14
.LBB12_84:                              ;   in Loop: Header=BB12_81 Depth=5
	v_add_u32_e32 v14, s15, v17
	s_branch .LBB12_80
.LBB12_85:                              ;   in Loop: Header=BB12_79 Depth=4
	s_and_b64 vcc, exec, s[50:51]
	s_cbranch_vccz .LBB12_87
; %bb.86:                               ;   in Loop: Header=BB12_79 Depth=4
	v_add_u32_e32 v14, v20, v11
	v_mad_u64_u32 v[14:15], s[58:59], v14, s19, v[10:11]
	s_cbranch_execnz .LBB12_78
	s_branch .LBB12_88
.LBB12_87:                              ;   in Loop: Header=BB12_79 Depth=4
                                        ; implicit-def: $vgpr14
.LBB12_88:                              ;   in Loop: Header=BB12_79 Depth=4
	v_add_u32_e32 v14, v20, v18
	s_branch .LBB12_78
.LBB12_89:
	s_ashr_i32 s43, s42, 31
	s_lshl_b64 s[0:1], s[42:43], 2
	s_add_u32 s0, s22, s0
	s_addc_u32 s1, s23, s1
	v_mov_b32_e32 v6, 0
	s_waitcnt lgkmcnt(0)
	global_load_dword v6, v6, s[0:1]
	s_waitcnt vmcnt(0)
	v_subrev_u32_e32 v6, s18, v6
	v_cmp_ne_u32_e32 vcc, s30, v6
	s_cbranch_vccnz .LBB12_134
; %bb.90:
	v_and_b32_e32 v6, 0x3ff, v0
	v_cmp_gt_i32_e64 s[0:1], s19, v6
	v_lshlrev_b32_e32 v7, 3, v6
	s_and_saveexec_b64 s[4:5], s[0:1]
	s_cbranch_execz .LBB12_101
; %bb.91:
	s_mul_i32 s16, s42, s19
	v_bfe_u32 v9, v0, 10, 10
	s_cmp_lg_u32 s44, 0
	v_add_u32_e32 v8, s16, v6
	s_movk_i32 s8, 0x208
	v_cmp_gt_u32_e64 s[2:3], s19, v9
	s_cselect_b64 s[6:7], -1, 0
	v_mul_lo_u32 v12, s19, v8
	s_lshl_b32 s17, s19, 6
	v_mad_u32_u24 v13, v9, s8, v7
	s_mov_b64 s[8:9], 0
	v_mov_b32_e32 v8, v6
	s_branch .LBB12_93
.LBB12_92:                              ;   in Loop: Header=BB12_93 Depth=1
	s_or_b64 exec, exec, s[10:11]
	v_add_u32_e32 v8, 64, v8
	v_cmp_le_i32_e32 vcc, s19, v8
	v_add_u32_e32 v12, s17, v12
	s_or_b64 s[8:9], vcc, s[8:9]
	v_add_u32_e32 v13, 0x200, v13
	s_andn2_b64 exec, exec, s[8:9]
	s_cbranch_execz .LBB12_101
.LBB12_93:                              ; =>This Loop Header: Depth=1
                                        ;     Child Loop BB12_96 Depth 2
	s_and_saveexec_b64 s[10:11], s[2:3]
	s_cbranch_execz .LBB12_92
; %bb.94:                               ;   in Loop: Header=BB12_93 Depth=1
	s_mov_b64 s[12:13], 0
	v_mov_b32_e32 v14, v13
	v_mov_b32_e32 v15, v9
	s_branch .LBB12_96
.LBB12_95:                              ;   in Loop: Header=BB12_96 Depth=2
	v_ashrrev_i32_e32 v11, 31, v10
	v_lshl_add_u64 v[10:11], v[10:11], 3, s[24:25]
	global_load_dwordx2 v[10:11], v[10:11], off
	v_add_u32_e32 v15, 1, v15
	v_cmp_le_i32_e32 vcc, s19, v15
	s_or_b64 s[12:13], vcc, s[12:13]
	s_waitcnt vmcnt(0)
	ds_write_b64 v14, v[10:11]
	v_add_u32_e32 v14, 0x208, v14
	s_andn2_b64 exec, exec, s[12:13]
	s_cbranch_execz .LBB12_92
.LBB12_96:                              ;   Parent Loop BB12_93 Depth=1
                                        ; =>  This Inner Loop Header: Depth=2
	s_and_b64 vcc, exec, s[6:7]
	s_cbranch_vccz .LBB12_98
; %bb.97:                               ;   in Loop: Header=BB12_96 Depth=2
	v_add_u32_e32 v10, s16, v15
	v_mad_u64_u32 v[10:11], s[14:15], v10, s19, v[8:9]
	s_cbranch_execnz .LBB12_95
	s_branch .LBB12_99
.LBB12_98:                              ;   in Loop: Header=BB12_96 Depth=2
                                        ; implicit-def: $vgpr10
.LBB12_99:                              ;   in Loop: Header=BB12_96 Depth=2
	v_add_u32_e32 v10, v12, v15
	s_branch .LBB12_95
.LBB12_100:
	s_mov_b64 s[40:41], -1
	s_branch .LBB12_169
.LBB12_101:
	s_or_b64 exec, exec, s[4:5]
	s_cmp_lt_i32 s19, 1
	s_waitcnt lgkmcnt(0)
	s_cbranch_scc1 .LBB12_123
; %bb.102:
	s_cmp_eq_u64 s[36:37], 8
	v_cvt_f64_f32_e32 v[8:9], v1
	s_cselect_b64 vcc, -1, 0
	v_bfe_u32 v1, v0, 10, 10
	v_cndmask_b32_e32 v4, v8, v4, vcc
	v_or_b32_e32 v8, v6, v1
	v_cmp_eq_u32_e64 s[2:3], 0, v8
	v_mul_u32_u24_e32 v8, 0x208, v1
	s_movk_i32 s7, 0x210
	s_movk_i32 s6, 0x208
	v_add3_u32 v12, v8, v7, s7
	v_cndmask_b32_e64 v8, 0, 1, s[46:47]
	v_cndmask_b32_e32 v5, v9, v5, vcc
	s_mov_b32 s20, 0
	v_cmp_eq_u32_e64 s[4:5], 0, v1
	v_mad_u32_u24 v13, v1, s6, s6
	v_cmp_ne_u32_e64 s[6:7], 1, v8
.LBB12_103:                             ; =>This Loop Header: Depth=1
                                        ;     Child Loop BB12_115 Depth 2
                                        ;       Child Loop BB12_119 Depth 3
	s_mul_i32 s21, s20, 0x208
	s_lshl_b32 s8, s20, 3
	s_add_i32 s12, s21, s8
	v_mov_b32_e32 v8, s12
	s_waitcnt lgkmcnt(0)
	ds_read_b64 v[10:11], v8
	s_mov_b64 s[10:11], -1
	s_and_b64 vcc, exec, s[6:7]
	s_mov_b64 s[8:9], 0
                                        ; implicit-def: $vgpr8_vgpr9
	s_cbranch_vccz .LBB12_108
; %bb.104:                              ;   in Loop: Header=BB12_103 Depth=1
	s_andn2_b64 vcc, exec, s[10:11]
	s_mov_b64 s[10:11], 0
	s_cbranch_vccz .LBB12_111
.LBB12_105:                             ;   in Loop: Header=BB12_103 Depth=1
	s_andn2_b64 vcc, exec, s[8:9]
                                        ; implicit-def: $sgpr22
	s_cbranch_vccz .LBB12_112
.LBB12_106:                             ;   in Loop: Header=BB12_103 Depth=1
	s_andn2_b64 vcc, exec, s[10:11]
	s_cbranch_vccz .LBB12_121
.LBB12_107:                             ;   in Loop: Header=BB12_103 Depth=1
	v_add_u32_e32 v12, 0x210, v12
	s_cmp_eq_u32 s22, s19
	v_add_u32_e32 v13, 0x210, v13
	s_cbranch_scc0 .LBB12_122
	s_branch .LBB12_123
.LBB12_108:                             ;   in Loop: Header=BB12_103 Depth=1
	s_waitcnt lgkmcnt(0)
	v_cmp_ge_f64_e64 vcc, v[4:5], |v[10:11]|
	s_nop 1
	v_cndmask_b32_e32 v9, v11, v3, vcc
	v_cndmask_b32_e32 v8, v10, v2, vcc
	s_and_saveexec_b64 s[8:9], s[2:3]
; %bb.109:                              ;   in Loop: Header=BB12_103 Depth=1
	v_mov_b32_e32 v14, s12
	ds_write_b64 v14, v[8:9]
; %bb.110:                              ;   in Loop: Header=BB12_103 Depth=1
	s_or_b64 exec, exec, s[8:9]
	s_mov_b64 s[8:9], -1
	s_mov_b64 s[10:11], 0
	s_cbranch_execnz .LBB12_105
.LBB12_111:                             ;   in Loop: Header=BB12_103 Depth=1
	s_waitcnt lgkmcnt(0)
	v_cmp_neq_f64_e64 s[8:9], 0, v[10:11]
	s_mov_b64 s[10:11], -1
	v_mov_b64_e32 v[8:9], v[10:11]
	s_andn2_b64 vcc, exec, s[8:9]
                                        ; implicit-def: $sgpr22
	s_cbranch_vccnz .LBB12_106
.LBB12_112:                             ;   in Loop: Header=BB12_103 Depth=1
	s_add_i32 s22, s20, 1
	v_add_u32_e32 v14, s22, v6
	v_cmp_gt_i32_e32 vcc, s19, v14
	s_and_saveexec_b64 s[10:11], vcc
	s_cbranch_execz .LBB12_120
; %bb.113:                              ;   in Loop: Header=BB12_103 Depth=1
	v_add_u32_e32 v15, s22, v1
	v_cmp_gt_i32_e64 s[8:9], s19, v15
	s_mov_b64 s[12:13], 0
	v_mov_b32_e32 v16, v12
	s_branch .LBB12_115
.LBB12_114:                             ;   in Loop: Header=BB12_115 Depth=2
	s_or_b64 exec, exec, s[14:15]
	v_add_u32_e32 v14, 64, v14
	v_cmp_le_i32_e32 vcc, s19, v14
	s_or_b64 s[12:13], vcc, s[12:13]
	v_add_u32_e32 v16, 0x200, v16
	s_andn2_b64 exec, exec, s[12:13]
	s_cbranch_execz .LBB12_120
.LBB12_115:                             ;   Parent Loop BB12_103 Depth=1
                                        ; =>  This Loop Header: Depth=2
                                        ;       Child Loop BB12_119 Depth 3
	v_lshl_add_u32 v17, v14, 3, s21
	s_waitcnt lgkmcnt(0)
	ds_read_b64 v[10:11], v17
	s_waitcnt lgkmcnt(0)
	v_div_scale_f64 v[18:19], s[14:15], v[8:9], v[8:9], v[10:11]
	v_rcp_f64_e32 v[20:21], v[18:19]
	v_div_scale_f64 v[22:23], vcc, v[10:11], v[8:9], v[10:11]
	v_fma_f64 v[24:25], -v[18:19], v[20:21], 1.0
	v_fmac_f64_e32 v[20:21], v[20:21], v[24:25]
	v_fma_f64 v[24:25], -v[18:19], v[20:21], 1.0
	v_fmac_f64_e32 v[20:21], v[20:21], v[24:25]
	v_mul_f64 v[24:25], v[22:23], v[20:21]
	v_fma_f64 v[18:19], -v[18:19], v[24:25], v[22:23]
	v_div_fmas_f64 v[18:19], v[18:19], v[20:21], v[24:25]
	v_div_fixup_f64 v[10:11], v[18:19], v[8:9], v[10:11]
	s_and_saveexec_b64 s[14:15], s[4:5]
; %bb.116:                              ;   in Loop: Header=BB12_115 Depth=2
	ds_write_b64 v17, v[10:11]
; %bb.117:                              ;   in Loop: Header=BB12_115 Depth=2
	s_or_b64 exec, exec, s[14:15]
	s_and_saveexec_b64 s[14:15], s[8:9]
	s_cbranch_execz .LBB12_114
; %bb.118:                              ;   in Loop: Header=BB12_115 Depth=2
	s_mov_b64 s[16:17], 0
	v_mov_b32_e32 v17, v13
	v_mov_b32_e32 v18, v16
	;; [unrolled: 1-line block ×3, first 2 shown]
.LBB12_119:                             ;   Parent Loop BB12_103 Depth=1
                                        ;     Parent Loop BB12_115 Depth=2
                                        ; =>    This Inner Loop Header: Depth=3
	ds_read_b64 v[20:21], v17
	ds_read_b64 v[22:23], v18
	v_add_u32_e32 v19, 1, v19
	v_cmp_le_i32_e32 vcc, s19, v19
	s_or_b64 s[16:17], vcc, s[16:17]
	v_add_u32_e32 v17, 0x208, v17
	s_waitcnt lgkmcnt(0)
	v_fma_f64 v[20:21], -v[10:11], v[20:21], v[22:23]
	ds_write_b64 v18, v[20:21]
	v_add_u32_e32 v18, 0x208, v18
	s_andn2_b64 exec, exec, s[16:17]
	s_cbranch_execnz .LBB12_119
	s_branch .LBB12_114
.LBB12_120:                             ;   in Loop: Header=BB12_103 Depth=1
	s_or_b64 exec, exec, s[10:11]
	s_cbranch_execnz .LBB12_107
.LBB12_121:                             ;   in Loop: Header=BB12_103 Depth=1
	s_add_i32 s22, s20, 1
	s_mov_b64 s[40:41], -1
	v_add_u32_e32 v12, 0x210, v12
	s_cmp_eq_u32 s22, s19
	v_add_u32_e32 v13, 0x210, v13
	s_cbranch_scc1 .LBB12_123
.LBB12_122:                             ;   in Loop: Header=BB12_103 Depth=1
	s_mov_b32 s20, s22
	s_branch .LBB12_103
.LBB12_123:
	s_waitcnt lgkmcnt(0)
	s_and_saveexec_b64 s[2:3], s[0:1]
	s_cbranch_execz .LBB12_133
; %bb.124:
	s_mul_i32 s14, s42, s19
	v_bfe_u32 v1, v0, 10, 10
	s_cmp_lg_u32 s44, 0
	v_add_u32_e32 v2, s14, v6
	s_movk_i32 s6, 0x208
	v_cmp_gt_u32_e64 s[0:1], s19, v1
	s_cselect_b64 s[4:5], -1, 0
	v_mul_lo_u32 v8, s19, v2
	s_lshl_b32 s15, s19, 6
	v_mad_u32_u24 v7, v1, s6, v7
	s_mov_b64 s[6:7], 0
	s_branch .LBB12_126
.LBB12_125:                             ;   in Loop: Header=BB12_126 Depth=1
	s_or_b64 exec, exec, s[8:9]
	v_add_u32_e32 v6, 64, v6
	v_cmp_le_i32_e32 vcc, s19, v6
	v_add_u32_e32 v8, s15, v8
	s_or_b64 s[6:7], vcc, s[6:7]
	v_add_u32_e32 v7, 0x200, v7
	s_andn2_b64 exec, exec, s[6:7]
	s_cbranch_execz .LBB12_133
.LBB12_126:                             ; =>This Loop Header: Depth=1
                                        ;     Child Loop BB12_129 Depth 2
	s_and_saveexec_b64 s[8:9], s[0:1]
	s_cbranch_execz .LBB12_125
; %bb.127:                              ;   in Loop: Header=BB12_126 Depth=1
	s_mov_b64 s[10:11], 0
	v_mov_b32_e32 v9, v7
	v_mov_b32_e32 v10, v1
	s_branch .LBB12_129
.LBB12_128:                             ;   in Loop: Header=BB12_129 Depth=2
	v_add_u32_e32 v10, 1, v10
	v_ashrrev_i32_e32 v5, 31, v4
	v_cmp_le_i32_e32 vcc, s19, v10
	v_lshl_add_u64 v[4:5], v[4:5], 3, s[24:25]
	s_or_b64 s[10:11], vcc, s[10:11]
	v_add_u32_e32 v9, 0x208, v9
	s_waitcnt lgkmcnt(0)
	global_store_dwordx2 v[4:5], v[2:3], off
	s_andn2_b64 exec, exec, s[10:11]
	s_cbranch_execz .LBB12_125
.LBB12_129:                             ;   Parent Loop BB12_126 Depth=1
                                        ; =>  This Inner Loop Header: Depth=2
	ds_read_b64 v[2:3], v9
	s_and_b64 vcc, exec, s[4:5]
	s_cbranch_vccz .LBB12_131
; %bb.130:                              ;   in Loop: Header=BB12_129 Depth=2
	v_add_u32_e32 v4, s14, v10
	v_mad_u64_u32 v[4:5], s[12:13], v4, s19, v[6:7]
	s_cbranch_execnz .LBB12_128
	s_branch .LBB12_132
.LBB12_131:                             ;   in Loop: Header=BB12_129 Depth=2
                                        ; implicit-def: $vgpr4
.LBB12_132:                             ;   in Loop: Header=BB12_129 Depth=2
	v_add_u32_e32 v4, v8, v10
	s_branch .LBB12_128
.LBB12_133:
	s_or_b64 exec, exec, s[2:3]
.LBB12_134:
	s_add_i32 s22, s42, 1
	s_cmp_ge_i32 s22, s31
	s_cbranch_scc1 .LBB12_169
; %bb.135:
	v_and_b32_e32 v1, 0x3ff, v0
	s_mul_i32 s6, s19, s22
	v_add_u32_e32 v2, s6, v1
	v_bfe_u32 v8, v0, 10, 10
	s_mul_i32 s23, s42, s19
	v_mul_lo_u32 v10, s19, v2
	v_lshlrev_b32_e32 v2, 3, v1
	s_movk_i32 s33, 0x208
	s_cmp_lg_u32 s44, 0
	v_mad_u32_u24 v11, v8, s33, v2
	v_add_u32_e32 v2, s23, v8
	s_cselect_b64 s[10:11], -1, 0
	s_cmp_gt_i32 s19, 0
	v_mul_lo_u32 v2, s19, v2
	s_cselect_b64 s[4:5], -1, 0
	v_add_u32_e32 v12, s19, v2
	v_mul_u32_u24_e32 v2, 0x208, v1
	v_lshlrev_b32_e32 v3, 3, v8
	v_add3_u32 v13, v2, v3, 8
	v_cndmask_b32_e64 v2, 0, 1, s[4:5]
	v_cmp_ne_u32_e64 s[4:5], 1, v2
	v_cndmask_b32_e64 v2, 0, 1, s[10:11]
	v_cmp_gt_i32_e64 s[0:1], s19, v1
	v_cmp_gt_i32_e64 s[2:3], s19, v8
	v_add_u32_e32 v9, 1, v8
	s_mul_i32 s26, s19, s19
	s_lshl_b32 s27, s19, 6
	s_add_i32 s36, s19, 1
	v_cmp_ne_u32_e64 s[6:7], 1, v2
.LBB12_136:                             ; =>This Loop Header: Depth=1
                                        ;     Child Loop BB12_139 Depth 2
                                        ;       Child Loop BB12_142 Depth 3
                                        ;     Child Loop BB12_149 Depth 2
                                        ;       Child Loop BB12_152 Depth 3
                                        ;         Child Loop BB12_155 Depth 4
                                        ;     Child Loop BB12_160 Depth 2
                                        ;       Child Loop BB12_163 Depth 3
	s_mul_i32 s37, s22, s19
	s_and_saveexec_b64 s[8:9], s[0:1]
	s_cbranch_execz .LBB12_146
; %bb.137:                              ;   in Loop: Header=BB12_136 Depth=1
	s_mov_b64 s[12:13], 0
	v_mov_b32_e32 v3, v11
	v_mov_b32_e32 v6, v10
	;; [unrolled: 1-line block ×3, first 2 shown]
	s_branch .LBB12_139
.LBB12_138:                             ;   in Loop: Header=BB12_139 Depth=2
	s_or_b64 exec, exec, s[14:15]
	v_add_u32_e32 v2, 64, v2
	v_cmp_le_i32_e32 vcc, s19, v2
	v_add_u32_e32 v6, s27, v6
	s_or_b64 s[12:13], vcc, s[12:13]
	v_add_u32_e32 v3, 0x200, v3
	s_andn2_b64 exec, exec, s[12:13]
	s_cbranch_execz .LBB12_146
.LBB12_139:                             ;   Parent Loop BB12_136 Depth=1
                                        ; =>  This Loop Header: Depth=2
                                        ;       Child Loop BB12_142 Depth 3
	s_and_saveexec_b64 s[14:15], s[2:3]
	s_cbranch_execz .LBB12_138
; %bb.140:                              ;   in Loop: Header=BB12_139 Depth=2
	s_mov_b64 s[16:17], 0
	v_mov_b32_e32 v7, v3
	v_mov_b32_e32 v14, v8
	s_branch .LBB12_142
.LBB12_141:                             ;   in Loop: Header=BB12_142 Depth=3
	v_ashrrev_i32_e32 v5, 31, v4
	v_lshl_add_u64 v[4:5], v[4:5], 3, s[24:25]
	global_load_dwordx2 v[4:5], v[4:5], off
	v_add_u32_e32 v14, 1, v14
	v_cmp_le_i32_e32 vcc, s19, v14
	s_or_b64 s[16:17], vcc, s[16:17]
	s_waitcnt vmcnt(0)
	ds_write_b64 v7, v[4:5]
	v_add_u32_e32 v7, 0x208, v7
	s_andn2_b64 exec, exec, s[16:17]
	s_cbranch_execz .LBB12_138
.LBB12_142:                             ;   Parent Loop BB12_136 Depth=1
                                        ;     Parent Loop BB12_139 Depth=2
                                        ; =>    This Inner Loop Header: Depth=3
	s_and_b64 vcc, exec, s[10:11]
	s_cbranch_vccz .LBB12_144
; %bb.143:                              ;   in Loop: Header=BB12_142 Depth=3
	v_add_u32_e32 v4, s37, v14
	v_mad_u64_u32 v[4:5], s[20:21], v4, s19, v[2:3]
	s_cbranch_execnz .LBB12_141
	s_branch .LBB12_145
.LBB12_144:                             ;   in Loop: Header=BB12_142 Depth=3
                                        ; implicit-def: $vgpr4
.LBB12_145:                             ;   in Loop: Header=BB12_142 Depth=3
	v_add_u32_e32 v4, v6, v14
	s_branch .LBB12_141
.LBB12_146:                             ;   in Loop: Header=BB12_136 Depth=1
	s_or_b64 exec, exec, s[8:9]
	s_and_b64 vcc, exec, s[4:5]
	s_waitcnt lgkmcnt(0)
	s_cbranch_vccnz .LBB12_157
; %bb.147:                              ;   in Loop: Header=BB12_136 Depth=1
	s_mov_b32 s42, 0
	v_mov_b32_e32 v4, v13
	v_mov_b32_e32 v5, v12
	s_branch .LBB12_149
.LBB12_148:                             ;   in Loop: Header=BB12_149 Depth=2
	s_or_b64 exec, exec, s[12:13]
	s_add_i32 s42, s42, 1
	v_add_u32_e32 v5, s36, v5
	s_cmp_eq_u32 s42, s19
	v_add_u32_e32 v4, 8, v4
	s_cbranch_scc1 .LBB12_157
.LBB12_149:                             ;   Parent Loop BB12_136 Depth=1
                                        ; =>  This Loop Header: Depth=2
                                        ;       Child Loop BB12_152 Depth 3
                                        ;         Child Loop BB12_155 Depth 4
	s_and_saveexec_b64 s[12:13], s[0:1]
	s_cbranch_execz .LBB12_148
; %bb.150:                              ;   in Loop: Header=BB12_149 Depth=2
	v_add_u32_e32 v6, s42, v9
	s_add_i32 s43, s42, s23
	v_cmp_gt_i32_e64 s[8:9], s19, v6
	s_mul_i32 s43, s43, s19
	s_mov_b64 s[14:15], 0
	v_mov_b32_e32 v7, v4
	v_mov_b32_e32 v14, v1
	s_branch .LBB12_152
.LBB12_151:                             ;   in Loop: Header=BB12_152 Depth=3
	s_or_b64 exec, exec, s[16:17]
	v_add_u32_e32 v14, 64, v14
	v_cmp_le_i32_e32 vcc, s19, v14
	s_or_b64 s[14:15], vcc, s[14:15]
	v_add_u32_e32 v7, 0x8200, v7
	s_andn2_b64 exec, exec, s[14:15]
	s_cbranch_execz .LBB12_148
.LBB12_152:                             ;   Parent Loop BB12_136 Depth=1
                                        ;     Parent Loop BB12_149 Depth=2
                                        ; =>    This Loop Header: Depth=3
                                        ;         Child Loop BB12_155 Depth 4
	s_and_saveexec_b64 s[16:17], s[8:9]
	s_cbranch_execz .LBB12_151
; %bb.153:                              ;   in Loop: Header=BB12_152 Depth=3
	v_mul_lo_u32 v2, v14, s33
	v_lshl_add_u32 v15, s42, 3, v2
	s_mov_b64 s[20:21], 0
	v_mov_b32_e32 v16, v7
	v_mov_b32_e32 v17, v5
	;; [unrolled: 1-line block ×3, first 2 shown]
	s_branch .LBB12_155
.LBB12_154:                             ;   in Loop: Header=BB12_155 Depth=4
	v_ashrrev_i32_e32 v3, 31, v2
	v_lshl_add_u64 v[2:3], v[2:3], 3, s[24:25]
	global_load_dwordx2 v[2:3], v[2:3], off
	ds_read_b64 v[20:21], v15
	ds_read_b64 v[22:23], v16
	v_add_u32_e32 v18, 1, v18
	v_cmp_le_i32_e32 vcc, s19, v18
	v_add_u32_e32 v17, s19, v17
	s_or_b64 s[20:21], vcc, s[20:21]
	s_waitcnt vmcnt(0) lgkmcnt(0)
	v_fma_f64 v[2:3], -v[2:3], v[20:21], v[22:23]
	ds_write_b64 v16, v[2:3]
	v_add_u32_e32 v16, 8, v16
	s_andn2_b64 exec, exec, s[20:21]
	s_cbranch_execz .LBB12_151
.LBB12_155:                             ;   Parent Loop BB12_136 Depth=1
                                        ;     Parent Loop BB12_149 Depth=2
                                        ;       Parent Loop BB12_152 Depth=3
                                        ; =>      This Inner Loop Header: Depth=4
	s_and_b64 vcc, exec, s[6:7]
	v_mov_b32_e32 v2, v17
	s_cbranch_vccnz .LBB12_154
; %bb.156:                              ;   in Loop: Header=BB12_155 Depth=4
	v_add_u32_e32 v2, s43, v18
	s_branch .LBB12_154
.LBB12_157:                             ;   in Loop: Header=BB12_136 Depth=1
	s_waitcnt lgkmcnt(0)
	s_and_saveexec_b64 s[8:9], s[0:1]
	s_cbranch_execz .LBB12_167
; %bb.158:                              ;   in Loop: Header=BB12_136 Depth=1
	s_mov_b64 s[12:13], 0
	v_mov_b32_e32 v3, v11
	v_mov_b32_e32 v14, v10
	;; [unrolled: 1-line block ×3, first 2 shown]
	s_branch .LBB12_160
.LBB12_159:                             ;   in Loop: Header=BB12_160 Depth=2
	s_or_b64 exec, exec, s[14:15]
	v_add_u32_e32 v2, 64, v2
	v_cmp_le_i32_e32 vcc, s19, v2
	v_add_u32_e32 v14, s27, v14
	s_or_b64 s[12:13], vcc, s[12:13]
	v_add_u32_e32 v3, 0x200, v3
	s_andn2_b64 exec, exec, s[12:13]
	s_cbranch_execz .LBB12_167
.LBB12_160:                             ;   Parent Loop BB12_136 Depth=1
                                        ; =>  This Loop Header: Depth=2
                                        ;       Child Loop BB12_163 Depth 3
	s_and_saveexec_b64 s[14:15], s[2:3]
	s_cbranch_execz .LBB12_159
; %bb.161:                              ;   in Loop: Header=BB12_160 Depth=2
	s_mov_b64 s[16:17], 0
	v_mov_b32_e32 v15, v3
	v_mov_b32_e32 v16, v8
	s_branch .LBB12_163
.LBB12_162:                             ;   in Loop: Header=BB12_163 Depth=3
	v_add_u32_e32 v16, 1, v16
	v_ashrrev_i32_e32 v7, 31, v6
	v_cmp_le_i32_e32 vcc, s19, v16
	v_lshl_add_u64 v[6:7], v[6:7], 3, s[24:25]
	s_or_b64 s[16:17], vcc, s[16:17]
	v_add_u32_e32 v15, 0x208, v15
	s_waitcnt lgkmcnt(0)
	global_store_dwordx2 v[6:7], v[4:5], off
	s_andn2_b64 exec, exec, s[16:17]
	s_cbranch_execz .LBB12_159
.LBB12_163:                             ;   Parent Loop BB12_136 Depth=1
                                        ;     Parent Loop BB12_160 Depth=2
                                        ; =>    This Inner Loop Header: Depth=3
	ds_read_b64 v[4:5], v15
	s_and_b64 vcc, exec, s[10:11]
	s_cbranch_vccz .LBB12_165
; %bb.164:                              ;   in Loop: Header=BB12_163 Depth=3
	v_add_u32_e32 v6, s37, v16
	v_mad_u64_u32 v[6:7], s[20:21], v6, s19, v[2:3]
	s_cbranch_execnz .LBB12_162
	s_branch .LBB12_166
.LBB12_165:                             ;   in Loop: Header=BB12_163 Depth=3
                                        ; implicit-def: $vgpr6
.LBB12_166:                             ;   in Loop: Header=BB12_163 Depth=3
	v_add_u32_e32 v6, v14, v16
	s_branch .LBB12_162
.LBB12_167:                             ;   in Loop: Header=BB12_136 Depth=1
	s_or_b64 exec, exec, s[8:9]
; %bb.168:                              ;   in Loop: Header=BB12_136 Depth=1
	s_add_i32 s22, s22, 1
	s_cmp_ge_i32 s22, s31
	v_add_u32_e32 v10, s26, v10
	s_cbranch_scc0 .LBB12_136
.LBB12_169:
	v_and_b32_e32 v0, 0xfffff, v0
	v_cmp_eq_u32_e32 vcc, 0, v0
	s_and_saveexec_b64 s[0:1], vcc
	s_cbranch_execz .LBB12_173
; %bb.170:
	s_add_u32 s0, s28, s38
	s_addc_u32 s1, s29, s39
	v_mov_b32_e32 v0, 0
	v_mov_b32_e32 v1, 1
	s_andn2_b64 vcc, exec, s[40:41]
	buffer_wbl2 sc1
	s_waitcnt vmcnt(0)
	global_store_dword v0, v1, s[0:1] sc1
	s_cbranch_vccnz .LBB12_173
; %bb.171:
	v_mbcnt_lo_u32_b32 v0, exec_lo, 0
	v_mbcnt_hi_u32_b32 v0, exec_hi, v0
	v_cmp_eq_u32_e32 vcc, 0, v0
	s_and_b64 exec, exec, vcc
	s_cbranch_execz .LBB12_173
; %bb.172:
	s_add_i32 s0, s30, s18
	v_mov_b32_e32 v0, 0
	v_mov_b32_e32 v1, s0
	global_atomic_smin v0, v1, s[34:35]
.LBB12_173:
	s_endpgm
	.section	.rodata,"a",@progbits
	.p2align	6, 0x0
	.amdhsa_kernel _ZN9rocsparseL13bsrilu0_33_64ILj64ELj64ELj64EdEEv20rocsparse_direction_iPKiS3_PT2_S3_iPiS3_S6_21rocsparse_index_base_imNS_24const_host_device_scalarIfEENS8_IdEENS8_IS4_EEb
		.amdhsa_group_segment_fixed_size 33280
		.amdhsa_private_segment_fixed_size 0
		.amdhsa_kernarg_size 116
		.amdhsa_user_sgpr_count 2
		.amdhsa_user_sgpr_dispatch_ptr 0
		.amdhsa_user_sgpr_queue_ptr 0
		.amdhsa_user_sgpr_kernarg_segment_ptr 1
		.amdhsa_user_sgpr_dispatch_id 0
		.amdhsa_user_sgpr_kernarg_preload_length 0
		.amdhsa_user_sgpr_kernarg_preload_offset 0
		.amdhsa_user_sgpr_private_segment_size 0
		.amdhsa_uses_dynamic_stack 0
		.amdhsa_enable_private_segment 0
		.amdhsa_system_sgpr_workgroup_id_x 1
		.amdhsa_system_sgpr_workgroup_id_y 0
		.amdhsa_system_sgpr_workgroup_id_z 0
		.amdhsa_system_sgpr_workgroup_info 0
		.amdhsa_system_vgpr_workitem_id 1
		.amdhsa_next_free_vgpr 257
		.amdhsa_next_free_sgpr 96
		.amdhsa_accum_offset 40
		.amdhsa_reserve_vcc 1
		.amdhsa_float_round_mode_32 0
		.amdhsa_float_round_mode_16_64 0
		.amdhsa_float_denorm_mode_32 3
		.amdhsa_float_denorm_mode_16_64 3
		.amdhsa_dx10_clamp 1
		.amdhsa_ieee_mode 1
		.amdhsa_fp16_overflow 0
		.amdhsa_tg_split 0
		.amdhsa_exception_fp_ieee_invalid_op 0
		.amdhsa_exception_fp_denorm_src 0
		.amdhsa_exception_fp_ieee_div_zero 0
		.amdhsa_exception_fp_ieee_overflow 0
		.amdhsa_exception_fp_ieee_underflow 0
		.amdhsa_exception_fp_ieee_inexact 0
		.amdhsa_exception_int_div_zero 0
	.end_amdhsa_kernel
	.section	.text._ZN9rocsparseL13bsrilu0_33_64ILj64ELj64ELj64EdEEv20rocsparse_direction_iPKiS3_PT2_S3_iPiS3_S6_21rocsparse_index_base_imNS_24const_host_device_scalarIfEENS8_IdEENS8_IS4_EEb,"axG",@progbits,_ZN9rocsparseL13bsrilu0_33_64ILj64ELj64ELj64EdEEv20rocsparse_direction_iPKiS3_PT2_S3_iPiS3_S6_21rocsparse_index_base_imNS_24const_host_device_scalarIfEENS8_IdEENS8_IS4_EEb,comdat
.Lfunc_end12:
	.size	_ZN9rocsparseL13bsrilu0_33_64ILj64ELj64ELj64EdEEv20rocsparse_direction_iPKiS3_PT2_S3_iPiS3_S6_21rocsparse_index_base_imNS_24const_host_device_scalarIfEENS8_IdEENS8_IS4_EEb, .Lfunc_end12-_ZN9rocsparseL13bsrilu0_33_64ILj64ELj64ELj64EdEEv20rocsparse_direction_iPKiS3_PT2_S3_iPiS3_S6_21rocsparse_index_base_imNS_24const_host_device_scalarIfEENS8_IdEENS8_IS4_EEb
                                        ; -- End function
	.set _ZN9rocsparseL13bsrilu0_33_64ILj64ELj64ELj64EdEEv20rocsparse_direction_iPKiS3_PT2_S3_iPiS3_S6_21rocsparse_index_base_imNS_24const_host_device_scalarIfEENS8_IdEENS8_IS4_EEb.num_vgpr, 39
	.set _ZN9rocsparseL13bsrilu0_33_64ILj64ELj64ELj64EdEEv20rocsparse_direction_iPKiS3_PT2_S3_iPiS3_S6_21rocsparse_index_base_imNS_24const_host_device_scalarIfEENS8_IdEENS8_IS4_EEb.num_agpr, 0
	.set _ZN9rocsparseL13bsrilu0_33_64ILj64ELj64ELj64EdEEv20rocsparse_direction_iPKiS3_PT2_S3_iPiS3_S6_21rocsparse_index_base_imNS_24const_host_device_scalarIfEENS8_IdEENS8_IS4_EEb.numbered_sgpr, 66
	.set _ZN9rocsparseL13bsrilu0_33_64ILj64ELj64ELj64EdEEv20rocsparse_direction_iPKiS3_PT2_S3_iPiS3_S6_21rocsparse_index_base_imNS_24const_host_device_scalarIfEENS8_IdEENS8_IS4_EEb.num_named_barrier, 0
	.set _ZN9rocsparseL13bsrilu0_33_64ILj64ELj64ELj64EdEEv20rocsparse_direction_iPKiS3_PT2_S3_iPiS3_S6_21rocsparse_index_base_imNS_24const_host_device_scalarIfEENS8_IdEENS8_IS4_EEb.private_seg_size, 0
	.set _ZN9rocsparseL13bsrilu0_33_64ILj64ELj64ELj64EdEEv20rocsparse_direction_iPKiS3_PT2_S3_iPiS3_S6_21rocsparse_index_base_imNS_24const_host_device_scalarIfEENS8_IdEENS8_IS4_EEb.uses_vcc, 1
	.set _ZN9rocsparseL13bsrilu0_33_64ILj64ELj64ELj64EdEEv20rocsparse_direction_iPKiS3_PT2_S3_iPiS3_S6_21rocsparse_index_base_imNS_24const_host_device_scalarIfEENS8_IdEENS8_IS4_EEb.uses_flat_scratch, 0
	.set _ZN9rocsparseL13bsrilu0_33_64ILj64ELj64ELj64EdEEv20rocsparse_direction_iPKiS3_PT2_S3_iPiS3_S6_21rocsparse_index_base_imNS_24const_host_device_scalarIfEENS8_IdEENS8_IS4_EEb.has_dyn_sized_stack, 0
	.set _ZN9rocsparseL13bsrilu0_33_64ILj64ELj64ELj64EdEEv20rocsparse_direction_iPKiS3_PT2_S3_iPiS3_S6_21rocsparse_index_base_imNS_24const_host_device_scalarIfEENS8_IdEENS8_IS4_EEb.has_recursion, 0
	.set _ZN9rocsparseL13bsrilu0_33_64ILj64ELj64ELj64EdEEv20rocsparse_direction_iPKiS3_PT2_S3_iPiS3_S6_21rocsparse_index_base_imNS_24const_host_device_scalarIfEENS8_IdEENS8_IS4_EEb.has_indirect_call, 0
	.section	.AMDGPU.csdata,"",@progbits
; Kernel info:
; codeLenInByte = 4420
; TotalNumSgprs: 72
; NumVgprs: 39
; NumAgprs: 0
; TotalNumVgprs: 39
; ScratchSize: 0
; MemoryBound: 0
; FloatMode: 240
; IeeeMode: 1
; LDSByteSize: 33280 bytes/workgroup (compile time only)
; SGPRBlocks: 12
; VGPRBlocks: 32
; NumSGPRsForWavesPerEU: 102
; NumVGPRsForWavesPerEU: 257
; AccumOffset: 40
; Occupancy: 1
; WaveLimiterHint : 1
; COMPUTE_PGM_RSRC2:SCRATCH_EN: 0
; COMPUTE_PGM_RSRC2:USER_SGPR: 2
; COMPUTE_PGM_RSRC2:TRAP_HANDLER: 0
; COMPUTE_PGM_RSRC2:TGID_X_EN: 1
; COMPUTE_PGM_RSRC2:TGID_Y_EN: 0
; COMPUTE_PGM_RSRC2:TGID_Z_EN: 0
; COMPUTE_PGM_RSRC2:TIDIG_COMP_CNT: 1
; COMPUTE_PGM_RSRC3_GFX90A:ACCUM_OFFSET: 9
; COMPUTE_PGM_RSRC3_GFX90A:TG_SPLIT: 0
	.section	.text._ZN9rocsparseL15bsrilu0_generalILj128ELj64ELb0EdEEv20rocsparse_direction_iPKiS3_PT2_S3_iPiS3_S6_21rocsparse_index_base_imNS_24const_host_device_scalarIfEENS8_IdEENS8_IS4_EEb,"axG",@progbits,_ZN9rocsparseL15bsrilu0_generalILj128ELj64ELb0EdEEv20rocsparse_direction_iPKiS3_PT2_S3_iPiS3_S6_21rocsparse_index_base_imNS_24const_host_device_scalarIfEENS8_IdEENS8_IS4_EEb,comdat
	.globl	_ZN9rocsparseL15bsrilu0_generalILj128ELj64ELb0EdEEv20rocsparse_direction_iPKiS3_PT2_S3_iPiS3_S6_21rocsparse_index_base_imNS_24const_host_device_scalarIfEENS8_IdEENS8_IS4_EEb ; -- Begin function _ZN9rocsparseL15bsrilu0_generalILj128ELj64ELb0EdEEv20rocsparse_direction_iPKiS3_PT2_S3_iPiS3_S6_21rocsparse_index_base_imNS_24const_host_device_scalarIfEENS8_IdEENS8_IS4_EEb
	.p2align	8
	.type	_ZN9rocsparseL15bsrilu0_generalILj128ELj64ELb0EdEEv20rocsparse_direction_iPKiS3_PT2_S3_iPiS3_S6_21rocsparse_index_base_imNS_24const_host_device_scalarIfEENS8_IdEENS8_IS4_EEb,@function
_ZN9rocsparseL15bsrilu0_generalILj128ELj64ELb0EdEEv20rocsparse_direction_iPKiS3_PT2_S3_iPiS3_S6_21rocsparse_index_base_imNS_24const_host_device_scalarIfEENS8_IdEENS8_IS4_EEb: ; @_ZN9rocsparseL15bsrilu0_generalILj128ELj64ELb0EdEEv20rocsparse_direction_iPKiS3_PT2_S3_iPiS3_S6_21rocsparse_index_base_imNS_24const_host_device_scalarIfEENS8_IdEENS8_IS4_EEb
; %bb.0:
	s_load_dword s3, s[0:1], 0x70
	s_load_dwordx2 s[14:15], s[0:1], 0x48
	s_load_dwordx8 s[24:31], s[0:1], 0x50
	s_waitcnt lgkmcnt(0)
	s_bitcmp1_b32 s3, 0
	s_cselect_b64 s[4:5], -1, 0
	s_cmp_eq_u32 s15, 0
	s_cselect_b64 s[6:7], -1, 0
	s_cmp_lg_u32 s15, 0
	s_cselect_b64 s[36:37], -1, 0
	s_or_b64 s[4:5], s[6:7], s[4:5]
	s_xor_b64 s[8:9], s[4:5], -1
	s_and_b64 s[10:11], s[6:7], exec
	s_cselect_b32 s11, 0, s29
	s_cselect_b32 s10, 0, s28
	s_and_b64 vcc, exec, s[4:5]
	s_cbranch_vccnz .LBB13_2
; %bb.1:
	s_load_dword s3, s[26:27], 0x0
	s_mov_b64 s[10:11], s[28:29]
	s_waitcnt lgkmcnt(0)
	v_mov_b32_e32 v32, s3
	s_branch .LBB13_3
.LBB13_2:
	v_mov_b32_e32 v1, s26
	v_cndmask_b32_e64 v32, v1, 0, s[6:7]
.LBB13_3:
	v_cndmask_b32_e64 v1, 0, 1, s[8:9]
	v_cmp_ne_u32_e64 s[4:5], 1, v1
	s_andn2_b64 vcc, exec, s[8:9]
	v_mov_b64_e32 v[8:9], s[10:11]
	s_cbranch_vccnz .LBB13_5
; %bb.4:
	v_mov_b64_e32 v[2:3], s[28:29]
	flat_load_dwordx2 v[8:9], v[2:3]
.LBB13_5:
	s_and_b64 s[6:7], s[6:7], exec
	s_cselect_b32 s7, 0, s31
	s_cselect_b32 s6, 0, s30
	s_and_b64 vcc, exec, s[4:5]
	v_mov_b64_e32 v[4:5], s[6:7]
	s_cbranch_vccnz .LBB13_7
; %bb.6:
	v_mov_b64_e32 v[2:3], s[30:31]
	flat_load_dwordx2 v[4:5], v[2:3]
.LBB13_7:
	s_load_dwordx2 s[34:35], s[0:1], 0x0
	s_lshl_b32 s2, s2, 1
	v_lshrrev_b32_e32 v1, 6, v0
	s_and_b32 s2, s2, 0x3fffffe
	v_or_b32_e32 v1, s2, v1
	s_waitcnt lgkmcnt(0)
	v_cmp_gt_i32_e32 vcc, s35, v1
	s_and_saveexec_b64 s[2:3], vcc
	s_cbranch_execz .LBB13_140
; %bb.8:
	s_load_dwordx4 s[28:31], s[0:1], 0x30
	s_load_dwordx2 s[26:27], s[0:1], 0x40
	v_lshlrev_b32_e32 v1, 2, v1
	s_load_dwordx8 s[16:23], s[0:1], 0x8
	v_and_b32_e32 v0, 63, v0
	s_waitcnt lgkmcnt(0)
	global_load_dword v2, v1, s[30:31]
	s_mov_b64 s[2:3], -1
	s_waitcnt vmcnt(0)
	v_ashrrev_i32_e32 v3, 31, v2
	v_lshl_add_u64 v[6:7], v[2:3], 2, s[22:23]
	global_load_dword v6, v[6:7], off
	s_waitcnt vmcnt(0)
	v_cmp_ne_u32_e32 vcc, -1, v6
	s_and_saveexec_b64 s[30:31], vcc
	s_cbranch_execz .LBB13_134
; %bb.9:
	v_lshl_add_u64 v[10:11], v[2:3], 2, s[16:17]
	global_load_dwordx2 v[10:11], v[10:11], off
	s_load_dword s15, s[0:1], 0x28
	s_mov_b64 s[8:9], 0
	s_waitcnt vmcnt(0)
	v_subrev_u32_e32 v10, s14, v10
	v_subrev_u32_e32 v1, s14, v11
	v_cmp_lt_i32_e32 vcc, v10, v6
	s_and_saveexec_b64 s[38:39], vcc
	s_cbranch_execz .LBB13_75
; %bb.10:
	s_waitcnt lgkmcnt(0)
	s_cmp_gt_i32 s15, 0
	s_cselect_b64 s[6:7], -1, 0
	v_add_u32_e32 v12, v10, v0
	v_mad_u64_u32 v[16:17], s[8:9], s15, v10, v[0:1]
	v_cndmask_b32_e64 v11, 0, 1, s[6:7]
	s_cmp_lg_u32 s34, 0
	v_ashrrev_i32_e32 v13, 31, v12
	v_mul_lo_u32 v7, s15, v16
	v_cmp_ne_u32_e64 s[6:7], 1, v11
	v_mbcnt_lo_u32_b32 v11, -1, 0
	s_cselect_b64 s[40:41], -1, 0
	v_cmp_gt_i32_e64 s[0:1], s15, v0
	v_cmp_le_i32_e64 s[2:3], s15, v0
	v_cmp_lt_i32_e64 s[4:5], v12, v1
	s_add_i32 s33, s35, 1
	v_lshl_add_u64 v[14:15], v[12:13], 2, s[18:19]
	s_mul_i32 s35, s15, s15
	s_add_i32 s60, s15, 1
	v_add_u32_e32 v13, 1, v7
	s_lshl_b32 s61, s15, 6
	s_add_i32 s62, s15, -1
	s_mov_b64 s[48:49], 0
	s_mov_b64 s[42:43], 0
	v_mbcnt_hi_u32_b32 v33, -1, v11
                                        ; implicit-def: $sgpr44_sgpr45
                                        ; implicit-def: $sgpr46_sgpr47
	s_branch .LBB13_13
.LBB13_11:                              ;   in Loop: Header=BB13_13 Depth=1
	s_or_b64 exec, exec, s[10:11]
	s_andn2_b64 s[10:11], s[46:47], exec
	s_and_b64 s[12:13], s[48:49], exec
	s_or_b64 s[46:47], s[10:11], s[12:13]
.LBB13_12:                              ;   in Loop: Header=BB13_13 Depth=1
	s_or_b64 exec, exec, s[50:51]
	v_add_u32_e32 v10, 1, v10
	v_cmp_ge_i32_e32 vcc, v10, v6
	s_xor_b64 s[8:9], s[8:9], -1
	s_or_b64 s[8:9], s[8:9], vcc
	s_and_b64 s[8:9], exec, s[8:9]
	s_or_b64 s[42:43], s[8:9], s[42:43]
	s_andn2_b64 s[8:9], s[44:45], exec
	s_and_b64 s[10:11], s[46:47], exec
	v_add_u32_e32 v13, s35, v13
	v_add_u32_e32 v7, s35, v7
	s_or_b64 s[44:45], s[8:9], s[10:11]
	s_mov_b64 s[48:49], s[46:47]
	s_andn2_b64 exec, exec, s[42:43]
	s_cbranch_execz .LBB13_74
.LBB13_13:                              ; =>This Loop Header: Depth=1
                                        ;     Child Loop BB13_16 Depth 2
                                        ;     Child Loop BB13_21 Depth 2
                                        ;       Child Loop BB13_26 Depth 3
                                        ;         Child Loop BB13_35 Depth 4
                                        ;     Child Loop BB13_48 Depth 2
                                        ;       Child Loop BB13_53 Depth 3
                                        ;       Child Loop BB13_60 Depth 3
                                        ;         Child Loop BB13_62 Depth 4
                                        ;           Child Loop BB13_64 Depth 5
	v_ashrrev_i32_e32 v11, 31, v10
	v_lshl_add_u64 v[16:17], v[10:11], 2, s[18:19]
	global_load_dword v11, v[16:17], off
	s_or_b64 s[46:47], s[46:47], exec
	s_waitcnt vmcnt(0)
	v_subrev_u32_e32 v16, s14, v11
	v_ashrrev_i32_e32 v17, 31, v16
	s_waitcnt lgkmcnt(0)
	v_lshl_add_u64 v[18:19], v[16:17], 2, s[22:23]
	global_load_dword v19, v[18:19], off
	s_waitcnt vmcnt(0)
	v_cmp_ne_u32_e64 s[8:9], -1, v19
	s_and_saveexec_b64 s[50:51], s[8:9]
	s_cbranch_execz .LBB13_12
; %bb.14:                               ;   in Loop: Header=BB13_13 Depth=1
	v_lshlrev_b64 v[16:17], 2, v[16:17]
	v_lshl_add_u64 v[20:21], s[16:17], 0, v[16:17]
	v_lshl_add_u64 v[16:17], s[28:29], 0, v[16:17]
	global_load_dword v23, v[20:21], off offset:4
	global_load_dword v11, v[16:17], off sc1
	s_waitcnt vmcnt(0)
	v_cmp_eq_u32_e32 vcc, 0, v11
	s_and_saveexec_b64 s[10:11], vcc
	s_cbranch_execz .LBB13_17
; %bb.15:                               ;   in Loop: Header=BB13_13 Depth=1
	s_mov_b64 s[12:13], 0
.LBB13_16:                              ;   Parent Loop BB13_13 Depth=1
                                        ; =>  This Inner Loop Header: Depth=2
	global_load_dword v11, v[16:17], off sc1
	s_waitcnt vmcnt(0)
	v_cmp_ne_u32_e32 vcc, 0, v11
	s_or_b64 s[12:13], vcc, s[12:13]
	s_andn2_b64 exec, exec, s[12:13]
	s_cbranch_execnz .LBB13_16
.LBB13_17:                              ;   in Loop: Header=BB13_13 Depth=1
	s_or_b64 exec, exec, s[10:11]
	s_and_b64 vcc, exec, s[6:7]
	v_mul_lo_u32 v11, v10, s15
	buffer_inv sc1
	s_cbranch_vccnz .LBB13_44
; %bb.18:                               ;   in Loop: Header=BB13_13 Depth=1
	v_mad_u64_u32 v[16:17], s[10:11], s35, v19, 1
	v_mul_lo_u32 v34, v19, s15
	v_mov_b32_e32 v18, 0
	s_mov_b64 s[52:53], 0
	s_mov_b32 s63, s62
	v_mov_b32_e32 v17, v13
	s_branch .LBB13_21
.LBB13_19:                              ;   in Loop: Header=BB13_21 Depth=2
	s_or_b64 exec, exec, s[56:57]
	v_mov_b32_e32 v18, v35
.LBB13_20:                              ;   in Loop: Header=BB13_21 Depth=2
	s_or_b64 exec, exec, s[54:55]
	s_add_i32 s63, s63, -1
	v_cmp_eq_u32_e32 vcc, s15, v18
	v_add_u32_e32 v16, s60, v16
	s_or_b64 s[52:53], vcc, s[52:53]
	v_add_u32_e32 v17, 1, v17
	s_andn2_b64 exec, exec, s[52:53]
	s_cbranch_execz .LBB13_43
.LBB13_21:                              ;   Parent Loop BB13_13 Depth=1
                                        ; =>  This Loop Header: Depth=2
                                        ;       Child Loop BB13_26 Depth 3
                                        ;         Child Loop BB13_35 Depth 4
	v_add_u32_e32 v35, 1, v18
	s_and_saveexec_b64 s[10:11], s[2:3]
	s_xor_b64 s[10:11], exec, s[10:11]
; %bb.22:                               ;   in Loop: Header=BB13_21 Depth=2
	v_add_u32_e32 v18, 1, v18
                                        ; implicit-def: $vgpr35
; %bb.23:                               ;   in Loop: Header=BB13_21 Depth=2
	s_andn2_saveexec_b64 s[54:55], s[10:11]
	s_cbranch_execz .LBB13_20
; %bb.24:                               ;   in Loop: Header=BB13_21 Depth=2
	v_add_u32_e32 v20, v18, v34
	v_mad_u64_u32 v[20:21], s[10:11], v20, s15, v[18:19]
	v_ashrrev_i32_e32 v21, 31, v20
	v_lshl_add_u64 v[20:21], v[20:21], 3, s[20:21]
	global_load_dwordx2 v[20:21], v[20:21], off
	v_add_u32_e32 v22, v18, v11
	v_mul_lo_u32 v36, v22, s15
	v_cmp_gt_i32_e64 s[10:11], s15, v35
	s_mov_b64 s[56:57], 0
	v_mov_b32_e32 v37, v17
	v_mov_b32_e32 v22, v0
	s_branch .LBB13_26
.LBB13_25:                              ;   in Loop: Header=BB13_26 Depth=3
	s_or_b64 exec, exec, s[58:59]
	v_add_u32_e32 v22, 64, v22
	v_cmp_le_i32_e32 vcc, s15, v22
	s_or_b64 s[56:57], vcc, s[56:57]
	v_add_u32_e32 v37, s61, v37
	s_andn2_b64 exec, exec, s[56:57]
	s_cbranch_execz .LBB13_19
.LBB13_26:                              ;   Parent Loop BB13_13 Depth=1
                                        ;     Parent Loop BB13_21 Depth=2
                                        ; =>    This Loop Header: Depth=3
                                        ;         Child Loop BB13_35 Depth 4
	s_and_b64 vcc, exec, s[40:41]
	v_add_u32_e32 v26, v22, v36
	s_cbranch_vccz .LBB13_41
; %bb.27:                               ;   in Loop: Header=BB13_26 Depth=3
	v_add_u32_e32 v24, v22, v36
	v_add_u32_e32 v27, v22, v11
	s_cbranch_execnz .LBB13_29
.LBB13_28:                              ;   in Loop: Header=BB13_26 Depth=3
	v_mad_u64_u32 v[24:25], s[12:13], v27, s15, v[18:19]
.LBB13_29:                              ;   in Loop: Header=BB13_26 Depth=3
	v_ashrrev_i32_e32 v25, 31, v24
	v_lshl_add_u64 v[24:25], v[24:25], 3, s[20:21]
	global_load_dwordx2 v[24:25], v[24:25], off
	s_and_b64 vcc, exec, s[40:41]
	s_cbranch_vccz .LBB13_42
; %bb.30:                               ;   in Loop: Header=BB13_26 Depth=3
	s_cbranch_execnz .LBB13_32
.LBB13_31:                              ;   in Loop: Header=BB13_26 Depth=3
	v_mad_u64_u32 v[26:27], s[12:13], v27, s15, v[18:19]
.LBB13_32:                              ;   in Loop: Header=BB13_26 Depth=3
	s_waitcnt vmcnt(0)
	v_div_scale_f64 v[28:29], s[12:13], v[20:21], v[20:21], v[24:25]
	v_rcp_f64_e32 v[30:31], v[28:29]
	v_div_scale_f64 v[38:39], vcc, v[24:25], v[20:21], v[24:25]
	v_ashrrev_i32_e32 v27, 31, v26
	v_fma_f64 v[40:41], -v[28:29], v[30:31], 1.0
	v_fmac_f64_e32 v[30:31], v[30:31], v[40:41]
	v_fma_f64 v[40:41], -v[28:29], v[30:31], 1.0
	v_fmac_f64_e32 v[30:31], v[30:31], v[40:41]
	v_mul_f64 v[40:41], v[38:39], v[30:31]
	v_fma_f64 v[28:29], -v[28:29], v[40:41], v[38:39]
	v_div_fmas_f64 v[28:29], v[28:29], v[30:31], v[40:41]
	v_div_fixup_f64 v[24:25], v[28:29], v[20:21], v[24:25]
	v_lshl_add_u64 v[26:27], v[26:27], 3, s[20:21]
	global_store_dwordx2 v[26:27], v[24:25], off
	s_and_saveexec_b64 s[58:59], s[10:11]
	s_cbranch_execz .LBB13_25
; %bb.33:                               ;   in Loop: Header=BB13_26 Depth=3
	s_mov_b32 s64, s63
	v_mov_b32_e32 v38, v37
	v_mov_b32_e32 v39, v16
	;; [unrolled: 1-line block ×3, first 2 shown]
	s_branch .LBB13_35
.LBB13_34:                              ;   in Loop: Header=BB13_35 Depth=4
	v_ashrrev_i32_e32 v29, 31, v28
	s_add_i32 s64, s64, -1
	s_waitcnt vmcnt(0)
	v_fma_f64 v[26:27], -v[24:25], v[26:27], v[30:31]
	v_lshl_add_u64 v[28:29], v[28:29], 3, s[20:21]
	v_add_u32_e32 v40, 1, v40
	v_add_u32_e32 v39, 1, v39
	s_cmp_eq_u32 s64, 0
	v_add_u32_e32 v38, 1, v38
	global_store_dwordx2 v[28:29], v[26:27], off
	s_cbranch_scc1 .LBB13_25
.LBB13_35:                              ;   Parent Loop BB13_13 Depth=1
                                        ;     Parent Loop BB13_21 Depth=2
                                        ;       Parent Loop BB13_26 Depth=3
                                        ; =>      This Inner Loop Header: Depth=4
	v_cndmask_b32_e64 v26, 0, 1, s[40:41]
	v_cmp_ne_u32_e64 s[12:13], 1, v26
	s_andn2_b64 vcc, exec, s[40:41]
	v_mov_b32_e32 v26, v39
	s_cbranch_vccnz .LBB13_37
; %bb.36:                               ;   in Loop: Header=BB13_35 Depth=4
	v_add_u32_e32 v26, v40, v34
	v_mad_u64_u32 v[26:27], s[66:67], v26, s15, v[18:19]
.LBB13_37:                              ;   in Loop: Header=BB13_35 Depth=4
	v_ashrrev_i32_e32 v27, 31, v26
	v_lshl_add_u64 v[26:27], v[26:27], 3, s[20:21]
	global_load_dwordx2 v[26:27], v[26:27], off
	s_and_b64 vcc, exec, s[12:13]
	v_add_u32_e32 v41, v40, v11
	v_mov_b32_e32 v28, v38
	s_cbranch_vccnz .LBB13_39
; %bb.38:                               ;   in Loop: Header=BB13_35 Depth=4
	v_mad_u64_u32 v[28:29], s[66:67], v41, s15, v[22:23]
.LBB13_39:                              ;   in Loop: Header=BB13_35 Depth=4
	v_ashrrev_i32_e32 v29, 31, v28
	v_lshl_add_u64 v[28:29], v[28:29], 3, s[20:21]
	global_load_dwordx2 v[30:31], v[28:29], off
	s_and_b64 vcc, exec, s[12:13]
	v_mov_b32_e32 v28, v38
	s_cbranch_vccnz .LBB13_34
; %bb.40:                               ;   in Loop: Header=BB13_35 Depth=4
	v_mad_u64_u32 v[28:29], s[12:13], v41, s15, v[22:23]
	s_branch .LBB13_34
.LBB13_41:                              ;   in Loop: Header=BB13_26 Depth=3
                                        ; implicit-def: $vgpr24
	v_add_u32_e32 v27, v22, v11
	s_branch .LBB13_28
.LBB13_42:                              ;   in Loop: Header=BB13_26 Depth=3
                                        ; implicit-def: $vgpr26
	s_branch .LBB13_31
.LBB13_43:                              ;   in Loop: Header=BB13_13 Depth=1
	s_or_b64 exec, exec, s[52:53]
.LBB13_44:                              ;   in Loop: Header=BB13_13 Depth=1
	v_subrev_u32_e32 v26, s14, v23
	v_add_u32_e32 v16, 1, v19
	v_cmp_lt_i32_e32 vcc, v16, v26
	s_and_saveexec_b64 s[10:11], vcc
	s_cbranch_execz .LBB13_11
; %bb.45:                               ;   in Loop: Header=BB13_13 Depth=1
	v_mul_lo_u32 v27, s35, v16
	s_mov_b64 s[12:13], 0
	s_branch .LBB13_48
.LBB13_46:                              ;   in Loop: Header=BB13_48 Depth=2
	s_or_b64 exec, exec, s[52:53]
.LBB13_47:                              ;   in Loop: Header=BB13_48 Depth=2
	v_add_u32_e32 v16, 1, v16
	v_cmp_ge_i32_e32 vcc, v16, v26
	s_or_b64 s[12:13], vcc, s[12:13]
	v_add_u32_e32 v27, s35, v27
	s_andn2_b64 exec, exec, s[12:13]
	s_cbranch_execz .LBB13_11
.LBB13_48:                              ;   Parent Loop BB13_13 Depth=1
                                        ; =>  This Loop Header: Depth=2
                                        ;       Child Loop BB13_53 Depth 3
                                        ;       Child Loop BB13_60 Depth 3
                                        ;         Child Loop BB13_62 Depth 4
                                        ;           Child Loop BB13_64 Depth 5
	v_ashrrev_i32_e32 v17, 31, v16
	s_waitcnt lgkmcnt(0)
	v_lshl_add_u64 v[18:19], v[16:17], 2, s[18:19]
	global_load_dword v17, v[18:19], off
	v_mov_b32_e32 v19, s33
	s_and_saveexec_b64 s[52:53], s[4:5]
	s_cbranch_execz .LBB13_50
; %bb.49:                               ;   in Loop: Header=BB13_48 Depth=2
	global_load_dword v18, v[14:15], off
	s_waitcnt vmcnt(0)
	v_subrev_u32_e32 v19, s14, v18
.LBB13_50:                              ;   in Loop: Header=BB13_48 Depth=2
	s_or_b64 exec, exec, s[52:53]
	s_waitcnt vmcnt(0)
	v_subrev_u32_e32 v17, s14, v17
	v_cmp_lt_i32_e32 vcc, v19, v17
	v_mov_b32_e32 v20, v12
	s_and_saveexec_b64 s[52:53], vcc
	s_cbranch_execz .LBB13_56
; %bb.51:                               ;   in Loop: Header=BB13_48 Depth=2
	s_mov_b64 s[54:55], 0
	v_mov_b32_e32 v18, v12
	s_branch .LBB13_53
.LBB13_52:                              ;   in Loop: Header=BB13_53 Depth=3
	s_or_b64 exec, exec, s[56:57]
	v_cmp_ge_i32_e32 vcc, v19, v17
	s_or_b64 s[54:55], vcc, s[54:55]
	v_mov_b32_e32 v18, v20
	s_andn2_b64 exec, exec, s[54:55]
	s_cbranch_execz .LBB13_55
.LBB13_53:                              ;   Parent Loop BB13_13 Depth=1
                                        ;     Parent Loop BB13_48 Depth=2
                                        ; =>    This Inner Loop Header: Depth=3
	v_add_u32_e32 v20, 64, v18
	v_cmp_lt_i32_e32 vcc, v20, v1
	v_mov_b32_e32 v19, s33
	s_and_saveexec_b64 s[56:57], vcc
	s_cbranch_execz .LBB13_52
; %bb.54:                               ;   in Loop: Header=BB13_53 Depth=3
	v_ashrrev_i32_e32 v19, 31, v18
	v_lshl_add_u64 v[18:19], v[18:19], 2, s[18:19]
	global_load_dword v18, v[18:19], off offset:256
	s_waitcnt vmcnt(0)
	v_subrev_u32_e32 v19, s14, v18
	s_branch .LBB13_52
.LBB13_55:                              ;   in Loop: Header=BB13_48 Depth=2
	s_or_b64 exec, exec, s[54:55]
.LBB13_56:                              ;   in Loop: Header=BB13_48 Depth=2
	s_or_b64 exec, exec, s[52:53]
	v_cmp_eq_u32_e32 vcc, v19, v17
	s_cbranch_vccz .LBB13_47
; %bb.57:                               ;   in Loop: Header=BB13_48 Depth=2
	s_ff1_i32_b64 s52, vcc
	v_and_or_b32 v17, v33, 64, s52
	v_lshlrev_b32_e32 v17, 2, v17
	ds_bpermute_b32 v18, v17, v20
	s_and_saveexec_b64 s[52:53], s[0:1]
	s_cbranch_execz .LBB13_46
; %bb.58:                               ;   in Loop: Header=BB13_48 Depth=2
	v_mul_lo_u32 v17, v16, s15
	s_waitcnt lgkmcnt(0)
	v_mul_lo_u32 v19, v18, s15
	s_mov_b64 s[54:55], 0
	v_mov_b32_e32 v28, v7
	v_mov_b32_e32 v18, v0
	s_branch .LBB13_60
.LBB13_59:                              ;   in Loop: Header=BB13_60 Depth=3
	v_add_u32_e32 v18, 64, v18
	v_cmp_le_i32_e32 vcc, s15, v18
	s_or_b64 s[54:55], vcc, s[54:55]
	v_add_u32_e32 v28, s61, v28
	s_andn2_b64 exec, exec, s[54:55]
	s_cbranch_execz .LBB13_46
.LBB13_60:                              ;   Parent Loop BB13_13 Depth=1
                                        ;     Parent Loop BB13_48 Depth=2
                                        ; =>    This Loop Header: Depth=3
                                        ;         Child Loop BB13_62 Depth 4
                                        ;           Child Loop BB13_64 Depth 5
	v_add_u32_e32 v20, v18, v19
	v_mul_lo_u32 v29, v20, s15
	s_mov_b32 s58, 0
	v_mov_b32_e32 v30, v27
	s_branch .LBB13_62
.LBB13_61:                              ;   in Loop: Header=BB13_62 Depth=4
	v_ashrrev_i32_e32 v23, 31, v22
	v_lshl_add_u64 v[22:23], v[22:23], 3, s[20:21]
	global_load_dwordx2 v[24:25], v[22:23], off
	s_add_i32 s58, s58, 1
	s_cmp_eq_u32 s58, s15
	v_add_u32_e32 v30, 1, v30
	s_waitcnt vmcnt(0)
	v_add_f64 v[20:21], v[24:25], -v[20:21]
	global_store_dwordx2 v[22:23], v[20:21], off
	s_cbranch_scc1 .LBB13_59
.LBB13_62:                              ;   Parent Loop BB13_13 Depth=1
                                        ;     Parent Loop BB13_48 Depth=2
                                        ;       Parent Loop BB13_60 Depth=3
                                        ; =>      This Loop Header: Depth=4
                                        ;           Child Loop BB13_64 Depth 5
	v_add_u32_e32 v20, s58, v17
	v_mul_lo_u32 v31, v20, s15
	v_mov_b64_e32 v[20:21], 0
	v_mov_b32_e32 v34, v30
	s_mov_b32 s59, 0
	s_branch .LBB13_64
.LBB13_63:                              ;   in Loop: Header=BB13_64 Depth=5
	v_ashrrev_i32_e32 v25, 31, v24
	v_lshl_add_u64 v[24:25], v[24:25], 3, s[20:21]
	global_load_dwordx2 v[24:25], v[24:25], off
	s_add_i32 s59, s59, 1
	s_cmp_eq_u32 s15, s59
	v_add_u32_e32 v34, s15, v34
	s_waitcnt vmcnt(0)
	v_fmac_f64_e32 v[20:21], v[22:23], v[24:25]
	s_cbranch_scc1 .LBB13_70
.LBB13_64:                              ;   Parent Loop BB13_13 Depth=1
                                        ;     Parent Loop BB13_48 Depth=2
                                        ;       Parent Loop BB13_60 Depth=3
                                        ;         Parent Loop BB13_62 Depth=4
                                        ; =>        This Inner Loop Header: Depth=5
	s_and_b64 vcc, exec, s[40:41]
	s_cbranch_vccz .LBB13_69
; %bb.65:                               ;   in Loop: Header=BB13_64 Depth=5
	v_add_u32_e32 v22, s59, v11
	v_mad_u64_u32 v[22:23], s[56:57], v22, s15, v[18:19]
	s_cbranch_execnz .LBB13_67
.LBB13_66:                              ;   in Loop: Header=BB13_64 Depth=5
	v_add_u32_e32 v22, s59, v28
.LBB13_67:                              ;   in Loop: Header=BB13_64 Depth=5
	v_ashrrev_i32_e32 v23, 31, v22
	v_lshl_add_u64 v[22:23], v[22:23], 3, s[20:21]
	global_load_dwordx2 v[22:23], v[22:23], off
	s_andn2_b64 vcc, exec, s[40:41]
	v_mov_b32_e32 v24, v34
	s_cbranch_vccnz .LBB13_63
; %bb.68:                               ;   in Loop: Header=BB13_64 Depth=5
	v_add_u32_e32 v24, s59, v31
	s_branch .LBB13_63
.LBB13_69:                              ;   in Loop: Header=BB13_64 Depth=5
                                        ; implicit-def: $vgpr22
	s_branch .LBB13_66
.LBB13_70:                              ;   in Loop: Header=BB13_62 Depth=4
	s_and_b64 vcc, exec, s[40:41]
	s_cbranch_vccz .LBB13_72
; %bb.71:                               ;   in Loop: Header=BB13_62 Depth=4
	v_add_u32_e32 v22, s58, v19
	v_mad_u64_u32 v[22:23], s[56:57], v22, s15, v[18:19]
	s_cbranch_execnz .LBB13_61
	s_branch .LBB13_73
.LBB13_72:                              ;   in Loop: Header=BB13_62 Depth=4
                                        ; implicit-def: $vgpr22
.LBB13_73:                              ;   in Loop: Header=BB13_62 Depth=4
	v_add_u32_e32 v22, s58, v29
	s_branch .LBB13_61
.LBB13_74:
	s_or_b64 exec, exec, s[42:43]
	s_and_b64 s[8:9], s[44:45], exec
.LBB13_75:
	s_or_b64 exec, exec, s[38:39]
	v_ashrrev_i32_e32 v7, 31, v6
	v_lshl_add_u64 v[10:11], v[6:7], 2, s[18:19]
	global_load_dword v7, v[10:11], off
	s_waitcnt lgkmcnt(0)
	s_cmp_gt_i32 s15, 0
	s_cselect_b64 s[10:11], -1, 0
	s_waitcnt vmcnt(0)
	v_subrev_u32_e32 v7, s14, v7
	v_cmp_eq_u32_e32 vcc, v7, v2
	s_and_b64 s[0:1], s[10:11], vcc
	s_and_saveexec_b64 s[12:13], s[0:1]
	s_cbranch_execz .LBB13_109
; %bb.76:
	s_cmp_eq_u64 s[24:25], 8
	v_cvt_f64_f32_e32 v[10:11], v32
	s_cselect_b64 vcc, -1, 0
	s_mul_i32 s2, s15, s15
	v_cndmask_b32_e32 v9, v11, v9, vcc
	v_cndmask_b32_e32 v8, v10, v8, vcc
	v_mul_lo_u32 v7, v6, s15
	v_mad_u64_u32 v[10:11], s[2:3], v6, s2, 1
	s_cmp_lg_u32 s34, 0
	v_add_u32_e32 v11, v7, v0
	s_cselect_b64 s[16:17], -1, 0
	s_add_i32 s33, s15, 1
	v_mul_lo_u32 v11, s15, v11
	v_cndmask_b32_e64 v13, 0, 1, s[36:37]
	v_cmp_eq_u32_e64 s[0:1], 0, v0
	v_add_u32_e32 v11, s33, v11
	s_lshl_b32 s35, s15, 6
	s_add_i32 s46, s15, -1
	v_mov_b32_e32 v12, 0
	s_mov_b64 s[18:19], 0
	v_cmp_ne_u32_e64 s[2:3], 1, v13
	s_mov_b64 s[24:25], s[8:9]
                                        ; implicit-def: $sgpr22_sgpr23
	s_branch .LBB13_78
.LBB13_77:                              ;   in Loop: Header=BB13_78 Depth=1
	s_or_b64 exec, exec, s[4:5]
	s_add_i32 s46, s46, -1
	v_cmp_eq_u32_e32 vcc, s15, v17
	s_or_b64 s[18:19], vcc, s[18:19]
	s_andn2_b64 s[4:5], s[22:23], exec
	s_and_b64 s[6:7], s[24:25], exec
	v_add_u32_e32 v10, s33, v10
	v_add_u32_e32 v11, s33, v11
	s_or_b64 s[22:23], s[4:5], s[6:7]
	v_mov_b32_e32 v12, v17
	s_andn2_b64 exec, exec, s[18:19]
	s_cbranch_execz .LBB13_108
.LBB13_78:                              ; =>This Loop Header: Depth=1
                                        ;     Child Loop BB13_88 Depth 2
                                        ;       Child Loop BB13_97 Depth 3
	v_add_u32_e32 v13, v12, v7
	v_mul_lo_u32 v13, v13, s15
	v_add_u32_e32 v14, v13, v12
	v_ashrrev_i32_e32 v15, 31, v14
	v_lshl_add_u64 v[18:19], v[14:15], 3, s[20:21]
	global_load_dwordx2 v[14:15], v[18:19], off
	s_mov_b64 s[6:7], -1
	s_and_b64 vcc, exec, s[2:3]
	s_mov_b64 s[4:5], 0
                                        ; implicit-def: $vgpr16_vgpr17
	s_cbranch_vccnz .LBB13_82
; %bb.79:                               ;   in Loop: Header=BB13_78 Depth=1
	s_waitcnt vmcnt(0)
	v_cmp_ge_f64_e64 vcc, v[8:9], |v[14:15]|
	s_nop 1
	v_cndmask_b32_e32 v17, v15, v5, vcc
	v_cndmask_b32_e32 v16, v14, v4, vcc
	s_and_saveexec_b64 s[4:5], s[0:1]
	s_cbranch_execz .LBB13_81
; %bb.80:                               ;   in Loop: Header=BB13_78 Depth=1
	global_store_dwordx2 v[18:19], v[16:17], off
.LBB13_81:                              ;   in Loop: Header=BB13_78 Depth=1
	s_or_b64 exec, exec, s[4:5]
	s_mov_b64 s[6:7], 0
	s_mov_b64 s[4:5], -1
.LBB13_82:                              ;   in Loop: Header=BB13_78 Depth=1
	s_andn2_b64 vcc, exec, s[6:7]
	s_mov_b64 s[36:37], 0
	s_cbranch_vccnz .LBB13_84
; %bb.83:                               ;   in Loop: Header=BB13_78 Depth=1
	s_waitcnt vmcnt(0)
	v_cmp_neq_f64_e32 vcc, 0, v[14:15]
	s_andn2_b64 s[4:5], s[4:5], exec
	s_and_b64 s[6:7], vcc, exec
	s_mov_b64 s[36:37], -1
	s_or_b64 s[4:5], s[4:5], s[6:7]
                                        ; implicit-def: $vgpr17
	s_and_saveexec_b64 s[6:7], s[4:5]
	s_xor_b64 s[38:39], exec, s[6:7]
	s_cbranch_execnz .LBB13_85
	s_branch .LBB13_106
.LBB13_84:                              ;   in Loop: Header=BB13_78 Depth=1
	s_waitcnt vmcnt(0)
	v_mov_b64_e32 v[14:15], v[16:17]
                                        ; implicit-def: $vgpr17
	s_and_saveexec_b64 s[6:7], s[4:5]
	s_xor_b64 s[38:39], exec, s[6:7]
	s_cbranch_execz .LBB13_106
.LBB13_85:                              ;   in Loop: Header=BB13_78 Depth=1
	v_add_u32_e32 v17, 1, v12
	v_add_u32_e32 v16, v17, v0
	v_cmp_gt_i32_e32 vcc, s15, v16
	s_and_saveexec_b64 s[40:41], vcc
	s_cbranch_execz .LBB13_105
; %bb.86:                               ;   in Loop: Header=BB13_78 Depth=1
	v_cmp_gt_i32_e64 s[4:5], s15, v17
	s_mov_b64 s[42:43], 0
	v_mov_b32_e32 v26, v11
	s_branch .LBB13_88
.LBB13_87:                              ;   in Loop: Header=BB13_88 Depth=2
	s_or_b64 exec, exec, s[44:45]
	v_add_u32_e32 v16, 64, v16
	v_cmp_le_i32_e32 vcc, s15, v16
	s_or_b64 s[42:43], vcc, s[42:43]
	v_add_u32_e32 v26, s35, v26
	s_andn2_b64 exec, exec, s[42:43]
	s_cbranch_execz .LBB13_105
.LBB13_88:                              ;   Parent Loop BB13_78 Depth=1
                                        ; =>  This Loop Header: Depth=2
                                        ;       Child Loop BB13_97 Depth 3
	s_and_b64 vcc, exec, s[16:17]
	v_add_u32_e32 v20, v16, v13
	s_cbranch_vccz .LBB13_103
; %bb.89:                               ;   in Loop: Header=BB13_88 Depth=2
	v_add_u32_e32 v18, v16, v13
	s_cbranch_execnz .LBB13_91
.LBB13_90:                              ;   in Loop: Header=BB13_88 Depth=2
	v_add_u32_e32 v18, v16, v7
	v_mad_u64_u32 v[18:19], s[6:7], v18, s15, v[12:13]
.LBB13_91:                              ;   in Loop: Header=BB13_88 Depth=2
	v_ashrrev_i32_e32 v19, 31, v18
	v_lshl_add_u64 v[18:19], v[18:19], 3, s[20:21]
	global_load_dwordx2 v[18:19], v[18:19], off
	s_and_b64 vcc, exec, s[16:17]
	s_cbranch_vccz .LBB13_104
; %bb.92:                               ;   in Loop: Header=BB13_88 Depth=2
	s_cbranch_execnz .LBB13_94
.LBB13_93:                              ;   in Loop: Header=BB13_88 Depth=2
	v_add_u32_e32 v20, v16, v7
	v_mad_u64_u32 v[20:21], s[6:7], v20, s15, v[12:13]
.LBB13_94:                              ;   in Loop: Header=BB13_88 Depth=2
	s_waitcnt vmcnt(0)
	v_div_scale_f64 v[22:23], s[6:7], v[14:15], v[14:15], v[18:19]
	v_rcp_f64_e32 v[24:25], v[22:23]
	v_div_scale_f64 v[28:29], vcc, v[18:19], v[14:15], v[18:19]
	v_ashrrev_i32_e32 v21, 31, v20
	v_fma_f64 v[30:31], -v[22:23], v[24:25], 1.0
	v_fmac_f64_e32 v[24:25], v[24:25], v[30:31]
	v_fma_f64 v[30:31], -v[22:23], v[24:25], 1.0
	v_fmac_f64_e32 v[24:25], v[24:25], v[30:31]
	v_mul_f64 v[30:31], v[28:29], v[24:25]
	v_fma_f64 v[22:23], -v[22:23], v[30:31], v[28:29]
	v_div_fmas_f64 v[22:23], v[22:23], v[24:25], v[30:31]
	v_div_fixup_f64 v[18:19], v[22:23], v[14:15], v[18:19]
	v_lshl_add_u64 v[20:21], v[20:21], 3, s[20:21]
	global_store_dwordx2 v[20:21], v[18:19], off
	s_and_saveexec_b64 s[44:45], s[4:5]
	s_cbranch_execz .LBB13_87
; %bb.95:                               ;   in Loop: Header=BB13_88 Depth=2
	s_mov_b32 s47, s46
	v_mov_b32_e32 v27, v26
	v_mov_b32_e32 v28, v10
	;; [unrolled: 1-line block ×3, first 2 shown]
	s_branch .LBB13_97
.LBB13_96:                              ;   in Loop: Header=BB13_97 Depth=3
	v_ashrrev_i32_e32 v23, 31, v22
	s_add_i32 s47, s47, -1
	s_waitcnt vmcnt(0)
	v_fma_f64 v[20:21], -v[18:19], v[20:21], v[24:25]
	v_lshl_add_u64 v[22:23], v[22:23], 3, s[20:21]
	v_add_u32_e32 v29, 1, v29
	v_add_u32_e32 v28, 1, v28
	s_cmp_eq_u32 s47, 0
	v_add_u32_e32 v27, 1, v27
	global_store_dwordx2 v[22:23], v[20:21], off
	s_cbranch_scc1 .LBB13_87
.LBB13_97:                              ;   Parent Loop BB13_78 Depth=1
                                        ;     Parent Loop BB13_88 Depth=2
                                        ; =>    This Inner Loop Header: Depth=3
	v_cndmask_b32_e64 v20, 0, 1, s[16:17]
	v_cmp_ne_u32_e64 s[6:7], 1, v20
	s_andn2_b64 vcc, exec, s[16:17]
	v_add_u32_e32 v30, v29, v7
	v_mov_b32_e32 v20, v28
	s_cbranch_vccnz .LBB13_99
; %bb.98:                               ;   in Loop: Header=BB13_97 Depth=3
	v_mad_u64_u32 v[20:21], s[48:49], v30, s15, v[12:13]
.LBB13_99:                              ;   in Loop: Header=BB13_97 Depth=3
	v_ashrrev_i32_e32 v21, 31, v20
	v_lshl_add_u64 v[20:21], v[20:21], 3, s[20:21]
	global_load_dwordx2 v[20:21], v[20:21], off
	s_and_b64 vcc, exec, s[6:7]
	v_mov_b32_e32 v22, v27
	s_cbranch_vccnz .LBB13_101
; %bb.100:                              ;   in Loop: Header=BB13_97 Depth=3
	v_mad_u64_u32 v[22:23], s[48:49], v30, s15, v[16:17]
.LBB13_101:                             ;   in Loop: Header=BB13_97 Depth=3
	v_ashrrev_i32_e32 v23, 31, v22
	v_lshl_add_u64 v[22:23], v[22:23], 3, s[20:21]
	global_load_dwordx2 v[24:25], v[22:23], off
	s_and_b64 vcc, exec, s[6:7]
	v_mov_b32_e32 v22, v27
	s_cbranch_vccnz .LBB13_96
; %bb.102:                              ;   in Loop: Header=BB13_97 Depth=3
	v_mad_u64_u32 v[22:23], s[6:7], v30, s15, v[16:17]
	s_branch .LBB13_96
.LBB13_103:                             ;   in Loop: Header=BB13_88 Depth=2
                                        ; implicit-def: $vgpr18
	s_branch .LBB13_90
.LBB13_104:                             ;   in Loop: Header=BB13_88 Depth=2
                                        ; implicit-def: $vgpr20
	s_branch .LBB13_93
.LBB13_105:                             ;   in Loop: Header=BB13_78 Depth=1
	s_or_b64 exec, exec, s[40:41]
	s_andn2_b64 s[36:37], s[36:37], exec
.LBB13_106:                             ;   in Loop: Header=BB13_78 Depth=1
	s_or_b64 exec, exec, s[38:39]
	s_andn2_b64 s[4:5], s[24:25], exec
	s_and_b64 s[6:7], s[24:25], exec
	s_or_b64 s[24:25], s[4:5], s[6:7]
	s_and_saveexec_b64 s[4:5], s[36:37]
	s_cbranch_execz .LBB13_77
; %bb.107:                              ;   in Loop: Header=BB13_78 Depth=1
	v_add_u32_e32 v17, 1, v12
	s_or_b64 s[24:25], s[24:25], exec
	s_branch .LBB13_77
.LBB13_108:
	s_or_b64 exec, exec, s[18:19]
	s_andn2_b64 s[0:1], s[8:9], exec
	s_and_b64 s[2:3], s[22:23], exec
	s_or_b64 s[8:9], s[0:1], s[2:3]
.LBB13_109:
	s_or_b64 exec, exec, s[12:13]
	v_add_u32_e32 v12, 1, v6
	v_cmp_lt_i32_e32 vcc, v12, v1
	s_and_saveexec_b64 s[6:7], vcc
	s_cbranch_execz .LBB13_133
; %bb.110:
	v_mul_lo_u32 v13, v6, s15
	v_mul_lo_u32 v4, s15, v13
	s_mul_i32 s25, s15, s15
	v_add_u32_e32 v14, s15, v4
	v_mul_lo_u32 v4, s25, v12
	s_cmp_lg_u32 s34, 0
	v_add3_u32 v15, v4, s15, v0
	v_cndmask_b32_e64 v4, 0, 1, s[10:11]
	v_cmp_gt_i32_e64 s[0:1], s15, v0
	s_cselect_b64 s[12:13], -1, 0
	s_add_i32 s24, s15, 1
	s_add_i32 s33, s15, -1
	s_mov_b64 s[16:17], 0
	v_cmp_ne_u32_e64 s[2:3], 1, v4
	s_branch .LBB13_112
.LBB13_111:                             ;   in Loop: Header=BB13_112 Depth=1
	v_add_u32_e32 v12, 1, v12
	v_cmp_ge_i32_e32 vcc, v12, v1
	s_or_b64 s[16:17], vcc, s[16:17]
	v_add_u32_e32 v15, s25, v15
	s_andn2_b64 exec, exec, s[16:17]
	s_cbranch_execz .LBB13_133
.LBB13_112:                             ; =>This Loop Header: Depth=1
                                        ;     Child Loop BB13_115 Depth 2
                                        ;       Child Loop BB13_118 Depth 3
                                        ;         Child Loop BB13_121 Depth 4
	s_and_b64 vcc, exec, s[2:3]
	s_cbranch_vccnz .LBB13_111
; %bb.113:                              ;   in Loop: Header=BB13_112 Depth=1
	v_mul_lo_u32 v16, v12, s15
	s_mov_b32 s35, 0
	s_mov_b32 s34, s33
	v_mov_b32_e32 v17, v15
	v_mov_b32_e32 v18, v14
	s_branch .LBB13_115
.LBB13_114:                             ;   in Loop: Header=BB13_115 Depth=2
	s_or_b64 exec, exec, s[10:11]
	s_add_i32 s34, s34, -1
	v_add_u32_e32 v18, s24, v18
	v_add_u32_e32 v17, s15, v17
	s_cmp_eq_u32 s36, s15
	s_mov_b32 s35, s36
	s_cbranch_scc1 .LBB13_111
.LBB13_115:                             ;   Parent Loop BB13_112 Depth=1
                                        ; =>  This Loop Header: Depth=2
                                        ;       Child Loop BB13_118 Depth 3
                                        ;         Child Loop BB13_121 Depth 4
	s_add_i32 s36, s35, 1
	s_and_saveexec_b64 s[10:11], s[0:1]
	s_cbranch_execz .LBB13_114
; %bb.116:                              ;   in Loop: Header=BB13_115 Depth=2
	s_cmp_lt_i32 s36, s15
	v_add_u32_e32 v4, s35, v13
	v_mul_lo_u32 v19, v4, s15
	v_add_u32_e32 v4, s35, v16
	s_cselect_b64 s[4:5], -1, 0
	v_mul_lo_u32 v20, v4, s15
	v_cndmask_b32_e64 v4, 0, 1, s[4:5]
	s_mov_b64 s[18:19], 0
	v_cmp_ne_u32_e64 s[4:5], 1, v4
	v_mov_b32_e32 v21, v17
	v_mov_b32_e32 v22, v0
	s_branch .LBB13_118
.LBB13_117:                             ;   in Loop: Header=BB13_118 Depth=3
	v_add_u32_e32 v22, 64, v22
	v_cmp_le_i32_e32 vcc, s15, v22
	s_or_b64 s[18:19], vcc, s[18:19]
	v_add_u32_e32 v21, 64, v21
	s_andn2_b64 exec, exec, s[18:19]
	s_cbranch_execz .LBB13_114
.LBB13_118:                             ;   Parent Loop BB13_112 Depth=1
                                        ;     Parent Loop BB13_115 Depth=2
                                        ; =>    This Loop Header: Depth=3
                                        ;         Child Loop BB13_121 Depth 4
	s_and_b64 vcc, exec, s[4:5]
	s_cbranch_vccnz .LBB13_117
; %bb.119:                              ;   in Loop: Header=BB13_118 Depth=3
	v_add_u32_e32 v4, v22, v16
	v_mul_lo_u32 v23, v4, s15
	v_add_u32_e32 v24, s35, v23
	v_add_u32_e32 v25, v22, v20
	s_mov_b32 s37, 0
	s_mov_b32 s38, s34
	;; [unrolled: 1-line block ×3, first 2 shown]
	s_branch .LBB13_121
.LBB13_120:                             ;   in Loop: Header=BB13_121 Depth=4
	v_ashrrev_i32_e32 v9, 31, v8
	s_add_i32 s39, s39, 1
	s_add_i32 s37, s37, s15
	s_add_i32 s38, s38, -1
	s_waitcnt vmcnt(0)
	v_fma_f64 v[4:5], -v[4:5], v[6:7], v[10:11]
	v_lshl_add_u64 v[6:7], v[8:9], 3, s[20:21]
	s_cmp_eq_u32 s38, 0
	global_store_dwordx2 v[6:7], v[4:5], off
	s_cbranch_scc1 .LBB13_117
.LBB13_121:                             ;   Parent Loop BB13_112 Depth=1
                                        ;     Parent Loop BB13_115 Depth=2
                                        ;       Parent Loop BB13_118 Depth=3
                                        ; =>      This Inner Loop Header: Depth=4
	s_and_b64 vcc, exec, s[12:13]
	s_cbranch_vccz .LBB13_129
; %bb.122:                              ;   in Loop: Header=BB13_121 Depth=4
	v_add_u32_e32 v4, s39, v19
	v_mov_b32_e32 v6, v24
	s_cbranch_execnz .LBB13_124
.LBB13_123:                             ;   in Loop: Header=BB13_121 Depth=4
	v_add_u32_e32 v4, s37, v18
	v_mov_b32_e32 v6, v25
.LBB13_124:                             ;   in Loop: Header=BB13_121 Depth=4
	v_ashrrev_i32_e32 v5, 31, v4
	v_lshl_add_u64 v[8:9], v[4:5], 3, s[20:21]
	v_ashrrev_i32_e32 v7, 31, v6
	v_lshl_add_u64 v[10:11], v[6:7], 3, s[20:21]
	global_load_dwordx2 v[4:5], v[8:9], off
	global_load_dwordx2 v[6:7], v[10:11], off
	s_and_b64 vcc, exec, s[12:13]
	v_add_u32_e32 v8, s39, v23
	s_cbranch_vccz .LBB13_130
; %bb.125:                              ;   in Loop: Header=BB13_121 Depth=4
	v_add_u32_e32 v10, s39, v23
	v_add_u32_e32 v9, s37, v21
	s_cbranch_execnz .LBB13_127
.LBB13_126:                             ;   in Loop: Header=BB13_121 Depth=4
	v_add_u32_e32 v10, s37, v21
.LBB13_127:                             ;   in Loop: Header=BB13_121 Depth=4
	v_ashrrev_i32_e32 v11, 31, v10
	v_lshl_add_u64 v[10:11], v[10:11], 3, s[20:21]
	global_load_dwordx2 v[10:11], v[10:11], off
	s_and_b64 vcc, exec, s[12:13]
	s_cbranch_vccz .LBB13_131
; %bb.128:                              ;   in Loop: Header=BB13_121 Depth=4
	s_cbranch_execnz .LBB13_120
	s_branch .LBB13_132
.LBB13_129:                             ;   in Loop: Header=BB13_121 Depth=4
                                        ; implicit-def: $vgpr4
	v_mov_b32_e32 v6, v24
	s_branch .LBB13_123
.LBB13_130:                             ;   in Loop: Header=BB13_121 Depth=4
                                        ; implicit-def: $vgpr10
	v_add_u32_e32 v9, s37, v21
	s_branch .LBB13_126
.LBB13_131:                             ;   in Loop: Header=BB13_121 Depth=4
                                        ; implicit-def: $vgpr8
.LBB13_132:                             ;   in Loop: Header=BB13_121 Depth=4
	v_mov_b32_e32 v8, v9
	s_branch .LBB13_120
.LBB13_133:
	s_or_b64 exec, exec, s[6:7]
	s_orn2_b64 s[2:3], s[8:9], exec
.LBB13_134:
	s_or_b64 exec, exec, s[30:31]
	v_cmp_eq_u32_e32 vcc, 0, v0
	s_and_b64 exec, exec, vcc
	s_cbranch_execz .LBB13_140
; %bb.135:
	v_lshl_add_u64 v[0:1], v[2:3], 2, s[28:29]
	v_mov_b32_e32 v3, 1
	buffer_wbl2 sc1
	s_waitcnt vmcnt(0)
	global_store_dword v[0:1], v3, off sc1
	s_and_b64 exec, exec, s[2:3]
	s_cbranch_execz .LBB13_140
; %bb.136:
	s_mov_b64 s[0:1], exec
	v_add_u32_e32 v0, s14, v2
	s_brev_b32 s2, -2
.LBB13_137:                             ; =>This Inner Loop Header: Depth=1
	s_ff1_i32_b64 s3, s[0:1]
	v_readlane_b32 s6, v0, s3
	s_lshl_b64 s[4:5], 1, s3
	s_min_i32 s2, s2, s6
	s_andn2_b64 s[0:1], s[0:1], s[4:5]
	s_cmp_lg_u64 s[0:1], 0
	s_cbranch_scc1 .LBB13_137
; %bb.138:
	v_mbcnt_lo_u32_b32 v0, exec_lo, 0
	v_mbcnt_hi_u32_b32 v0, exec_hi, v0
	v_cmp_eq_u32_e32 vcc, 0, v0
	s_and_saveexec_b64 s[0:1], vcc
	s_xor_b64 s[0:1], exec, s[0:1]
	s_cbranch_execz .LBB13_140
; %bb.139:
	v_mov_b32_e32 v0, 0
	v_mov_b32_e32 v1, s2
	global_atomic_smin v0, v1, s[26:27]
.LBB13_140:
	s_endpgm
	.section	.rodata,"a",@progbits
	.p2align	6, 0x0
	.amdhsa_kernel _ZN9rocsparseL15bsrilu0_generalILj128ELj64ELb0EdEEv20rocsparse_direction_iPKiS3_PT2_S3_iPiS3_S6_21rocsparse_index_base_imNS_24const_host_device_scalarIfEENS8_IdEENS8_IS4_EEb
		.amdhsa_group_segment_fixed_size 0
		.amdhsa_private_segment_fixed_size 0
		.amdhsa_kernarg_size 116
		.amdhsa_user_sgpr_count 2
		.amdhsa_user_sgpr_dispatch_ptr 0
		.amdhsa_user_sgpr_queue_ptr 0
		.amdhsa_user_sgpr_kernarg_segment_ptr 1
		.amdhsa_user_sgpr_dispatch_id 0
		.amdhsa_user_sgpr_kernarg_preload_length 0
		.amdhsa_user_sgpr_kernarg_preload_offset 0
		.amdhsa_user_sgpr_private_segment_size 0
		.amdhsa_uses_dynamic_stack 0
		.amdhsa_enable_private_segment 0
		.amdhsa_system_sgpr_workgroup_id_x 1
		.amdhsa_system_sgpr_workgroup_id_y 0
		.amdhsa_system_sgpr_workgroup_id_z 0
		.amdhsa_system_sgpr_workgroup_info 0
		.amdhsa_system_vgpr_workitem_id 0
		.amdhsa_next_free_vgpr 42
		.amdhsa_next_free_sgpr 68
		.amdhsa_accum_offset 44
		.amdhsa_reserve_vcc 1
		.amdhsa_float_round_mode_32 0
		.amdhsa_float_round_mode_16_64 0
		.amdhsa_float_denorm_mode_32 3
		.amdhsa_float_denorm_mode_16_64 3
		.amdhsa_dx10_clamp 1
		.amdhsa_ieee_mode 1
		.amdhsa_fp16_overflow 0
		.amdhsa_tg_split 0
		.amdhsa_exception_fp_ieee_invalid_op 0
		.amdhsa_exception_fp_denorm_src 0
		.amdhsa_exception_fp_ieee_div_zero 0
		.amdhsa_exception_fp_ieee_overflow 0
		.amdhsa_exception_fp_ieee_underflow 0
		.amdhsa_exception_fp_ieee_inexact 0
		.amdhsa_exception_int_div_zero 0
	.end_amdhsa_kernel
	.section	.text._ZN9rocsparseL15bsrilu0_generalILj128ELj64ELb0EdEEv20rocsparse_direction_iPKiS3_PT2_S3_iPiS3_S6_21rocsparse_index_base_imNS_24const_host_device_scalarIfEENS8_IdEENS8_IS4_EEb,"axG",@progbits,_ZN9rocsparseL15bsrilu0_generalILj128ELj64ELb0EdEEv20rocsparse_direction_iPKiS3_PT2_S3_iPiS3_S6_21rocsparse_index_base_imNS_24const_host_device_scalarIfEENS8_IdEENS8_IS4_EEb,comdat
.Lfunc_end13:
	.size	_ZN9rocsparseL15bsrilu0_generalILj128ELj64ELb0EdEEv20rocsparse_direction_iPKiS3_PT2_S3_iPiS3_S6_21rocsparse_index_base_imNS_24const_host_device_scalarIfEENS8_IdEENS8_IS4_EEb, .Lfunc_end13-_ZN9rocsparseL15bsrilu0_generalILj128ELj64ELb0EdEEv20rocsparse_direction_iPKiS3_PT2_S3_iPiS3_S6_21rocsparse_index_base_imNS_24const_host_device_scalarIfEENS8_IdEENS8_IS4_EEb
                                        ; -- End function
	.set _ZN9rocsparseL15bsrilu0_generalILj128ELj64ELb0EdEEv20rocsparse_direction_iPKiS3_PT2_S3_iPiS3_S6_21rocsparse_index_base_imNS_24const_host_device_scalarIfEENS8_IdEENS8_IS4_EEb.num_vgpr, 42
	.set _ZN9rocsparseL15bsrilu0_generalILj128ELj64ELb0EdEEv20rocsparse_direction_iPKiS3_PT2_S3_iPiS3_S6_21rocsparse_index_base_imNS_24const_host_device_scalarIfEENS8_IdEENS8_IS4_EEb.num_agpr, 0
	.set _ZN9rocsparseL15bsrilu0_generalILj128ELj64ELb0EdEEv20rocsparse_direction_iPKiS3_PT2_S3_iPiS3_S6_21rocsparse_index_base_imNS_24const_host_device_scalarIfEENS8_IdEENS8_IS4_EEb.numbered_sgpr, 68
	.set _ZN9rocsparseL15bsrilu0_generalILj128ELj64ELb0EdEEv20rocsparse_direction_iPKiS3_PT2_S3_iPiS3_S6_21rocsparse_index_base_imNS_24const_host_device_scalarIfEENS8_IdEENS8_IS4_EEb.num_named_barrier, 0
	.set _ZN9rocsparseL15bsrilu0_generalILj128ELj64ELb0EdEEv20rocsparse_direction_iPKiS3_PT2_S3_iPiS3_S6_21rocsparse_index_base_imNS_24const_host_device_scalarIfEENS8_IdEENS8_IS4_EEb.private_seg_size, 0
	.set _ZN9rocsparseL15bsrilu0_generalILj128ELj64ELb0EdEEv20rocsparse_direction_iPKiS3_PT2_S3_iPiS3_S6_21rocsparse_index_base_imNS_24const_host_device_scalarIfEENS8_IdEENS8_IS4_EEb.uses_vcc, 1
	.set _ZN9rocsparseL15bsrilu0_generalILj128ELj64ELb0EdEEv20rocsparse_direction_iPKiS3_PT2_S3_iPiS3_S6_21rocsparse_index_base_imNS_24const_host_device_scalarIfEENS8_IdEENS8_IS4_EEb.uses_flat_scratch, 0
	.set _ZN9rocsparseL15bsrilu0_generalILj128ELj64ELb0EdEEv20rocsparse_direction_iPKiS3_PT2_S3_iPiS3_S6_21rocsparse_index_base_imNS_24const_host_device_scalarIfEENS8_IdEENS8_IS4_EEb.has_dyn_sized_stack, 0
	.set _ZN9rocsparseL15bsrilu0_generalILj128ELj64ELb0EdEEv20rocsparse_direction_iPKiS3_PT2_S3_iPiS3_S6_21rocsparse_index_base_imNS_24const_host_device_scalarIfEENS8_IdEENS8_IS4_EEb.has_recursion, 0
	.set _ZN9rocsparseL15bsrilu0_generalILj128ELj64ELb0EdEEv20rocsparse_direction_iPKiS3_PT2_S3_iPiS3_S6_21rocsparse_index_base_imNS_24const_host_device_scalarIfEENS8_IdEENS8_IS4_EEb.has_indirect_call, 0
	.section	.AMDGPU.csdata,"",@progbits
; Kernel info:
; codeLenInByte = 3620
; TotalNumSgprs: 74
; NumVgprs: 42
; NumAgprs: 0
; TotalNumVgprs: 42
; ScratchSize: 0
; MemoryBound: 0
; FloatMode: 240
; IeeeMode: 1
; LDSByteSize: 0 bytes/workgroup (compile time only)
; SGPRBlocks: 9
; VGPRBlocks: 5
; NumSGPRsForWavesPerEU: 74
; NumVGPRsForWavesPerEU: 42
; AccumOffset: 44
; Occupancy: 8
; WaveLimiterHint : 1
; COMPUTE_PGM_RSRC2:SCRATCH_EN: 0
; COMPUTE_PGM_RSRC2:USER_SGPR: 2
; COMPUTE_PGM_RSRC2:TRAP_HANDLER: 0
; COMPUTE_PGM_RSRC2:TGID_X_EN: 1
; COMPUTE_PGM_RSRC2:TGID_Y_EN: 0
; COMPUTE_PGM_RSRC2:TGID_Z_EN: 0
; COMPUTE_PGM_RSRC2:TIDIG_COMP_CNT: 0
; COMPUTE_PGM_RSRC3_GFX90A:ACCUM_OFFSET: 10
; COMPUTE_PGM_RSRC3_GFX90A:TG_SPLIT: 0
	.section	.text._ZN9rocsparseL15bsrilu0_generalILj128ELj64ELb1E21rocsparse_complex_numIfEEEv20rocsparse_direction_iPKiS5_PT2_S5_iPiS5_S8_21rocsparse_index_base_imNS_24const_host_device_scalarIfEENSA_IdEENSA_IS6_EEb,"axG",@progbits,_ZN9rocsparseL15bsrilu0_generalILj128ELj64ELb1E21rocsparse_complex_numIfEEEv20rocsparse_direction_iPKiS5_PT2_S5_iPiS5_S8_21rocsparse_index_base_imNS_24const_host_device_scalarIfEENSA_IdEENSA_IS6_EEb,comdat
	.globl	_ZN9rocsparseL15bsrilu0_generalILj128ELj64ELb1E21rocsparse_complex_numIfEEEv20rocsparse_direction_iPKiS5_PT2_S5_iPiS5_S8_21rocsparse_index_base_imNS_24const_host_device_scalarIfEENSA_IdEENSA_IS6_EEb ; -- Begin function _ZN9rocsparseL15bsrilu0_generalILj128ELj64ELb1E21rocsparse_complex_numIfEEEv20rocsparse_direction_iPKiS5_PT2_S5_iPiS5_S8_21rocsparse_index_base_imNS_24const_host_device_scalarIfEENSA_IdEENSA_IS6_EEb
	.p2align	8
	.type	_ZN9rocsparseL15bsrilu0_generalILj128ELj64ELb1E21rocsparse_complex_numIfEEEv20rocsparse_direction_iPKiS5_PT2_S5_iPiS5_S8_21rocsparse_index_base_imNS_24const_host_device_scalarIfEENSA_IdEENSA_IS6_EEb,@function
_ZN9rocsparseL15bsrilu0_generalILj128ELj64ELb1E21rocsparse_complex_numIfEEEv20rocsparse_direction_iPKiS5_PT2_S5_iPiS5_S8_21rocsparse_index_base_imNS_24const_host_device_scalarIfEENSA_IdEENSA_IS6_EEb: ; @_ZN9rocsparseL15bsrilu0_generalILj128ELj64ELb1E21rocsparse_complex_numIfEEEv20rocsparse_direction_iPKiS5_PT2_S5_iPiS5_S8_21rocsparse_index_base_imNS_24const_host_device_scalarIfEENSA_IdEENSA_IS6_EEb
; %bb.0:
	s_load_dword s3, s[0:1], 0x70
	s_load_dwordx2 s[34:35], s[0:1], 0x48
	s_load_dwordx8 s[24:31], s[0:1], 0x50
	s_waitcnt lgkmcnt(0)
	s_bitcmp1_b32 s3, 0
	s_cselect_b64 s[4:5], -1, 0
	s_cmp_eq_u32 s35, 0
	s_cselect_b64 s[12:13], -1, 0
	s_cmp_lg_u32 s35, 0
	s_cselect_b64 s[6:7], -1, 0
	s_or_b64 s[14:15], s[12:13], s[4:5]
	s_xor_b64 s[8:9], s[14:15], -1
	s_and_b64 s[10:11], s[12:13], exec
	s_cselect_b32 s11, 0, s29
	s_cselect_b32 s10, 0, s28
	s_and_b64 vcc, exec, s[14:15]
	s_cbranch_vccnz .LBB14_2
; %bb.1:
	s_load_dword s3, s[26:27], 0x0
	s_mov_b64 s[10:11], s[28:29]
	s_waitcnt lgkmcnt(0)
	v_mov_b32_e32 v25, s3
	s_andn2_b64 vcc, exec, s[8:9]
	v_mov_b64_e32 v[6:7], s[10:11]
	s_cbranch_vccz .LBB14_3
	s_branch .LBB14_4
.LBB14_2:
	v_mov_b32_e32 v1, s26
	v_cndmask_b32_e64 v25, v1, 0, s[12:13]
	s_andn2_b64 vcc, exec, s[8:9]
	v_mov_b64_e32 v[6:7], s[10:11]
	s_cbranch_vccnz .LBB14_4
.LBB14_3:
	v_mov_b64_e32 v[2:3], s[28:29]
	flat_load_dwordx2 v[6:7], v[2:3]
.LBB14_4:
	s_mov_b32 s35, 0
	v_cndmask_b32_e64 v1, 0, 1, s[6:7]
	v_cmp_ne_u32_e64 s[14:15], 1, v1
	s_andn2_b64 vcc, exec, s[6:7]
	s_mov_b32 s60, s35
	s_cbranch_vccnz .LBB14_10
; %bb.5:
	s_xor_b64 s[6:7], s[4:5], -1
	v_cndmask_b32_e64 v1, 0, 1, s[6:7]
	v_cmp_ne_u32_e64 s[4:5], 1, v1
	s_andn2_b64 vcc, exec, s[6:7]
	s_mov_b32 s35, s30
	s_cbranch_vccnz .LBB14_7
; %bb.6:
	s_load_dword s35, s[30:31], 0x0
.LBB14_7:
	s_and_b64 vcc, exec, s[4:5]
	s_cbranch_vccnz .LBB14_9
; %bb.8:
	s_load_dword s31, s[30:31], 0x4
.LBB14_9:
	s_waitcnt lgkmcnt(0)
	s_mov_b32 s60, s31
.LBB14_10:
	s_load_dwordx2 s[36:37], s[0:1], 0x0
	s_lshl_b32 s2, s2, 1
	v_lshrrev_b32_e32 v1, 6, v0
	s_and_b32 s2, s2, 0x3fffffe
	v_or_b32_e32 v1, s2, v1
	s_waitcnt lgkmcnt(0)
	v_cmp_gt_i32_e32 vcc, s37, v1
	s_and_saveexec_b64 s[2:3], vcc
	s_cbranch_execz .LBB14_151
; %bb.11:
	s_load_dwordx4 s[28:31], s[0:1], 0x30
	s_load_dwordx2 s[26:27], s[0:1], 0x40
	v_lshlrev_b32_e32 v1, 2, v1
	s_load_dwordx8 s[16:23], s[0:1], 0x8
	v_and_b32_e32 v0, 63, v0
	s_waitcnt lgkmcnt(0)
	global_load_dword v2, v1, s[30:31]
	s_mov_b64 s[2:3], -1
	s_waitcnt vmcnt(0)
	v_ashrrev_i32_e32 v3, 31, v2
	v_lshl_add_u64 v[4:5], v[2:3], 2, s[22:23]
	global_load_dword v4, v[4:5], off
	s_waitcnt vmcnt(0)
	v_cmp_ne_u32_e32 vcc, -1, v4
	s_and_saveexec_b64 s[30:31], vcc
	s_cbranch_execz .LBB14_145
; %bb.12:
	v_lshl_add_u64 v[8:9], v[2:3], 2, s[16:17]
	global_load_dwordx2 v[8:9], v[8:9], off
	s_load_dword s33, s[0:1], 0x28
	s_mov_b64 s[6:7], 0
	s_waitcnt vmcnt(0)
	v_subrev_u32_e32 v8, s34, v8
	v_subrev_u32_e32 v1, s34, v9
	v_cmp_lt_i32_e32 vcc, v8, v4
	s_and_saveexec_b64 s[38:39], vcc
	s_cbranch_execz .LBB14_80
; %bb.13:
	s_waitcnt lgkmcnt(0)
	s_cmp_gt_i32 s33, 0
	s_cselect_b64 s[0:1], -1, 0
	v_add_u32_e32 v10, v8, v0
	v_mad_u64_u32 v[14:15], s[8:9], s33, v8, v[0:1]
	v_cndmask_b32_e64 v9, 0, 1, s[0:1]
	s_cmp_lg_u32 s36, 0
	v_ashrrev_i32_e32 v11, 31, v10
	v_mul_lo_u32 v5, s33, v14
	v_cmp_ne_u32_e64 s[8:9], 1, v9
	v_mbcnt_lo_u32_b32 v9, -1, 0
	s_cselect_b64 s[40:41], -1, 0
	v_cmp_gt_i32_e64 s[2:3], s33, v0
	v_cmp_le_i32_e64 s[4:5], s33, v0
	v_cmp_lt_i32_e64 s[6:7], v10, v1
	s_add_i32 s37, s37, 1
	v_lshl_add_u64 v[12:13], v[10:11], 2, s[18:19]
	s_mul_i32 s61, s33, s33
	s_add_i32 s62, s33, 1
	v_add_u32_e32 v11, 1, v5
	s_lshl_b32 s63, s33, 6
	s_add_i32 s64, s33, -1
	s_mov_b64 s[48:49], 0
	s_mov_b64 s[42:43], 0
	v_mbcnt_hi_u32_b32 v36, -1, v9
                                        ; implicit-def: $sgpr44_sgpr45
                                        ; implicit-def: $sgpr46_sgpr47
	s_branch .LBB14_16
.LBB14_14:                              ;   in Loop: Header=BB14_16 Depth=1
	s_or_b64 exec, exec, s[0:1]
	s_andn2_b64 s[0:1], s[46:47], exec
	s_and_b64 s[12:13], s[48:49], exec
	s_or_b64 s[46:47], s[0:1], s[12:13]
.LBB14_15:                              ;   in Loop: Header=BB14_16 Depth=1
	s_or_b64 exec, exec, s[50:51]
	v_add_u32_e32 v8, 1, v8
	v_cmp_ge_i32_e32 vcc, v8, v4
	s_xor_b64 s[0:1], s[10:11], -1
	s_or_b64 s[0:1], s[0:1], vcc
	s_and_b64 s[0:1], exec, s[0:1]
	s_or_b64 s[42:43], s[0:1], s[42:43]
	s_andn2_b64 s[0:1], s[44:45], exec
	s_and_b64 s[10:11], s[46:47], exec
	v_add_u32_e32 v11, s61, v11
	v_add_u32_e32 v5, s61, v5
	s_or_b64 s[44:45], s[0:1], s[10:11]
	s_mov_b64 s[48:49], s[46:47]
	s_andn2_b64 exec, exec, s[42:43]
	s_cbranch_execz .LBB14_79
.LBB14_16:                              ; =>This Loop Header: Depth=1
                                        ;     Child Loop BB14_20 Depth 2
                                        ;       Child Loop BB14_21 Depth 3
                                        ;     Child Loop BB14_26 Depth 2
                                        ;       Child Loop BB14_31 Depth 3
                                        ;         Child Loop BB14_40 Depth 4
                                        ;     Child Loop BB14_53 Depth 2
                                        ;       Child Loop BB14_58 Depth 3
                                        ;       Child Loop BB14_65 Depth 3
                                        ;         Child Loop BB14_67 Depth 4
                                        ;           Child Loop BB14_69 Depth 5
	v_ashrrev_i32_e32 v9, 31, v8
	v_lshl_add_u64 v[14:15], v[8:9], 2, s[18:19]
	global_load_dword v9, v[14:15], off
	s_or_b64 s[46:47], s[46:47], exec
	s_waitcnt vmcnt(0)
	v_subrev_u32_e32 v14, s34, v9
	v_ashrrev_i32_e32 v15, 31, v14
	s_waitcnt lgkmcnt(0)
	v_lshl_add_u64 v[16:17], v[14:15], 2, s[22:23]
	global_load_dword v17, v[16:17], off
	s_waitcnt vmcnt(0)
	v_cmp_ne_u32_e64 s[10:11], -1, v17
	s_and_saveexec_b64 s[50:51], s[10:11]
	s_cbranch_execz .LBB14_15
; %bb.17:                               ;   in Loop: Header=BB14_16 Depth=1
	v_lshlrev_b64 v[14:15], 2, v[14:15]
	v_lshl_add_u64 v[18:19], s[16:17], 0, v[14:15]
	v_lshl_add_u64 v[14:15], s[28:29], 0, v[14:15]
	global_load_dword v37, v[18:19], off offset:4
	global_load_dword v9, v[14:15], off sc1
	s_waitcnt vmcnt(0)
	v_cmp_eq_u32_e32 vcc, 0, v9
	s_and_saveexec_b64 s[0:1], vcc
	s_cbranch_execz .LBB14_22
; %bb.18:                               ;   in Loop: Header=BB14_16 Depth=1
	s_mov_b32 s52, 0
	s_mov_b64 s[12:13], 0
	s_branch .LBB14_20
.LBB14_19:                              ;   in Loop: Header=BB14_20 Depth=2
	global_load_dword v9, v[14:15], off sc1
	s_cmpk_lt_u32 s52, 0xf43
	s_cselect_b64 s[54:55], -1, 0
	s_cmp_lg_u64 s[54:55], 0
	s_addc_u32 s52, s52, 0
	s_waitcnt vmcnt(0)
	v_cmp_ne_u32_e32 vcc, 0, v9
	s_or_b64 s[12:13], vcc, s[12:13]
	s_andn2_b64 exec, exec, s[12:13]
	s_cbranch_execz .LBB14_22
.LBB14_20:                              ;   Parent Loop BB14_16 Depth=1
                                        ; =>  This Loop Header: Depth=2
                                        ;       Child Loop BB14_21 Depth 3
	s_cmp_eq_u32 s52, 0
	s_mov_b32 s53, s52
	s_cbranch_scc1 .LBB14_19
.LBB14_21:                              ;   Parent Loop BB14_16 Depth=1
                                        ;     Parent Loop BB14_20 Depth=2
                                        ; =>    This Inner Loop Header: Depth=3
	s_add_i32 s53, s53, -1
	s_cmp_eq_u32 s53, 0
	s_sleep 1
	s_cbranch_scc0 .LBB14_21
	s_branch .LBB14_19
.LBB14_22:                              ;   in Loop: Header=BB14_16 Depth=1
	s_or_b64 exec, exec, s[0:1]
	s_and_b64 vcc, exec, s[8:9]
	v_mul_lo_u32 v9, v8, s33
	buffer_inv sc1
	s_cbranch_vccnz .LBB14_49
; %bb.23:                               ;   in Loop: Header=BB14_16 Depth=1
	v_mad_u64_u32 v[14:15], s[0:1], s61, v17, 1
	v_mul_lo_u32 v38, v17, s33
	v_mov_b32_e32 v16, 0
	s_mov_b64 s[52:53], 0
	s_mov_b32 s65, s64
	v_mov_b32_e32 v15, v11
	s_branch .LBB14_26
.LBB14_24:                              ;   in Loop: Header=BB14_26 Depth=2
	s_or_b64 exec, exec, s[56:57]
	v_mov_b32_e32 v16, v39
.LBB14_25:                              ;   in Loop: Header=BB14_26 Depth=2
	s_or_b64 exec, exec, s[54:55]
	s_add_i32 s65, s65, -1
	v_cmp_eq_u32_e32 vcc, s33, v16
	v_add_u32_e32 v14, s62, v14
	s_or_b64 s[52:53], vcc, s[52:53]
	v_add_u32_e32 v15, 1, v15
	s_andn2_b64 exec, exec, s[52:53]
	s_cbranch_execz .LBB14_48
.LBB14_26:                              ;   Parent Loop BB14_16 Depth=1
                                        ; =>  This Loop Header: Depth=2
                                        ;       Child Loop BB14_31 Depth 3
                                        ;         Child Loop BB14_40 Depth 4
	v_add_u32_e32 v39, 1, v16
	s_and_saveexec_b64 s[0:1], s[4:5]
	s_xor_b64 s[0:1], exec, s[0:1]
; %bb.27:                               ;   in Loop: Header=BB14_26 Depth=2
	v_add_u32_e32 v16, 1, v16
                                        ; implicit-def: $vgpr39
; %bb.28:                               ;   in Loop: Header=BB14_26 Depth=2
	s_andn2_saveexec_b64 s[54:55], s[0:1]
	s_cbranch_execz .LBB14_25
; %bb.29:                               ;   in Loop: Header=BB14_26 Depth=2
	v_add_u32_e32 v18, v16, v38
	v_mad_u64_u32 v[18:19], s[0:1], v18, s33, v[16:17]
	v_ashrrev_i32_e32 v19, 31, v18
	v_lshl_add_u64 v[18:19], v[18:19], 3, s[20:21]
	global_load_dwordx2 v[18:19], v[18:19], off
	v_add_u32_e32 v20, v16, v9
	v_cmp_gt_i32_e64 s[12:13], s33, v39
	s_mov_b64 s[56:57], 0
	v_mov_b32_e32 v40, v15
	v_mul_lo_u32 v41, v20, s33
	s_waitcnt vmcnt(0)
	v_mul_f32_e32 v22, v19, v19
	v_fmac_f32_e32 v22, v18, v18
	v_div_scale_f32 v23, s[0:1], v22, v22, 1.0
	v_rcp_f32_e32 v24, v23
	v_div_scale_f32 v26, vcc, 1.0, v22, 1.0
	v_mov_b32_e32 v20, v18
	v_fma_f32 v27, -v23, v24, 1.0
	v_fmac_f32_e32 v24, v27, v24
	v_mul_f32_e32 v27, v26, v24
	v_fma_f32 v28, -v23, v27, v26
	v_fmac_f32_e32 v27, v28, v24
	v_fma_f32 v23, -v23, v27, v26
	v_div_fmas_f32 v23, v23, v24, v27
	v_div_fixup_f32 v22, v23, v22, 1.0
	v_mov_b32_e32 v21, v18
	v_mov_b32_e32 v18, v19
	;; [unrolled: 1-line block ×4, first 2 shown]
	s_branch .LBB14_31
.LBB14_30:                              ;   in Loop: Header=BB14_31 Depth=3
	s_or_b64 exec, exec, s[58:59]
	v_add_u32_e32 v24, 64, v24
	v_cmp_le_i32_e32 vcc, s33, v24
	s_or_b64 s[56:57], vcc, s[56:57]
	v_add_u32_e32 v40, s63, v40
	s_andn2_b64 exec, exec, s[56:57]
	s_cbranch_execz .LBB14_24
.LBB14_31:                              ;   Parent Loop BB14_16 Depth=1
                                        ;     Parent Loop BB14_26 Depth=2
                                        ; =>    This Loop Header: Depth=3
                                        ;         Child Loop BB14_40 Depth 4
	s_and_b64 vcc, exec, s[40:41]
	v_add_u32_e32 v28, v24, v41
	s_cbranch_vccz .LBB14_46
; %bb.32:                               ;   in Loop: Header=BB14_31 Depth=3
	v_add_u32_e32 v26, v24, v41
	v_add_u32_e32 v29, v24, v9
	s_cbranch_execnz .LBB14_34
.LBB14_33:                              ;   in Loop: Header=BB14_31 Depth=3
	v_mad_u64_u32 v[26:27], s[0:1], v29, s33, v[16:17]
.LBB14_34:                              ;   in Loop: Header=BB14_31 Depth=3
	v_ashrrev_i32_e32 v27, 31, v26
	v_lshl_add_u64 v[26:27], v[26:27], 3, s[20:21]
	global_load_dwordx2 v[26:27], v[26:27], off
	s_and_b64 vcc, exec, s[40:41]
	s_cbranch_vccz .LBB14_47
; %bb.35:                               ;   in Loop: Header=BB14_31 Depth=3
	s_cbranch_execnz .LBB14_37
.LBB14_36:                              ;   in Loop: Header=BB14_31 Depth=3
	v_mad_u64_u32 v[28:29], s[0:1], v29, s33, v[16:17]
.LBB14_37:                              ;   in Loop: Header=BB14_31 Depth=3
	s_waitcnt vmcnt(0)
	v_xor_b32_e32 v31, 0x80000000, v26
	v_mov_b32_e32 v30, v27
	v_pk_mul_f32 v[30:31], v[18:19], v[30:31]
	v_ashrrev_i32_e32 v29, 31, v28
	v_pk_fma_f32 v[26:27], v[26:27], v[20:21], v[30:31]
	v_lshl_add_u64 v[28:29], v[28:29], 3, s[20:21]
	v_pk_mul_f32 v[26:27], v[22:23], v[26:27]
	global_store_dwordx2 v[28:29], v[26:27], off
	s_and_saveexec_b64 s[58:59], s[12:13]
	s_cbranch_execz .LBB14_30
; %bb.38:                               ;   in Loop: Header=BB14_31 Depth=3
	v_pk_add_f32 v[28:29], v[26:27], 0 neg_lo:[1,1] neg_hi:[1,1]
	s_mov_b32 s66, s65
	v_pk_mov_b32 v[28:29], v[26:27], v[28:29] op_sel:[1,0]
	v_mov_b32_e32 v42, v40
	v_mov_b32_e32 v43, v14
	;; [unrolled: 1-line block ×3, first 2 shown]
	s_branch .LBB14_40
.LBB14_39:                              ;   in Loop: Header=BB14_40 Depth=4
	s_waitcnt vmcnt(0)
	v_pk_fma_f32 v[34:35], v[26:27], v[30:31], v[34:35] op_sel_hi:[1,0,1] neg_lo:[1,0,0] neg_hi:[1,0,0]
	v_ashrrev_i32_e32 v33, 31, v32
	s_add_i32 s66, s66, -1
	v_pk_fma_f32 v[30:31], v[28:29], v[30:31], v[34:35] op_sel:[0,1,0]
	v_lshl_add_u64 v[32:33], v[32:33], 3, s[20:21]
	v_add_u32_e32 v44, 1, v44
	v_add_u32_e32 v43, 1, v43
	s_cmp_eq_u32 s66, 0
	v_add_u32_e32 v42, 1, v42
	global_store_dwordx2 v[32:33], v[30:31], off
	s_cbranch_scc1 .LBB14_30
.LBB14_40:                              ;   Parent Loop BB14_16 Depth=1
                                        ;     Parent Loop BB14_26 Depth=2
                                        ;       Parent Loop BB14_31 Depth=3
                                        ; =>      This Inner Loop Header: Depth=4
	v_cndmask_b32_e64 v30, 0, 1, s[40:41]
	v_cmp_ne_u32_e64 s[0:1], 1, v30
	s_andn2_b64 vcc, exec, s[40:41]
	v_mov_b32_e32 v30, v43
	s_cbranch_vccnz .LBB14_42
; %bb.41:                               ;   in Loop: Header=BB14_40 Depth=4
	v_add_u32_e32 v30, v44, v38
	v_mad_u64_u32 v[30:31], s[68:69], v30, s33, v[16:17]
.LBB14_42:                              ;   in Loop: Header=BB14_40 Depth=4
	v_ashrrev_i32_e32 v31, 31, v30
	v_lshl_add_u64 v[30:31], v[30:31], 3, s[20:21]
	global_load_dwordx2 v[30:31], v[30:31], off
	s_and_b64 vcc, exec, s[0:1]
	v_add_u32_e32 v45, v44, v9
	v_mov_b32_e32 v32, v42
	s_cbranch_vccnz .LBB14_44
; %bb.43:                               ;   in Loop: Header=BB14_40 Depth=4
	v_mad_u64_u32 v[32:33], s[68:69], v45, s33, v[24:25]
.LBB14_44:                              ;   in Loop: Header=BB14_40 Depth=4
	v_ashrrev_i32_e32 v33, 31, v32
	v_lshl_add_u64 v[32:33], v[32:33], 3, s[20:21]
	global_load_dwordx2 v[34:35], v[32:33], off
	s_and_b64 vcc, exec, s[0:1]
	v_mov_b32_e32 v32, v42
	s_cbranch_vccnz .LBB14_39
; %bb.45:                               ;   in Loop: Header=BB14_40 Depth=4
	v_mad_u64_u32 v[32:33], s[0:1], v45, s33, v[24:25]
	s_branch .LBB14_39
.LBB14_46:                              ;   in Loop: Header=BB14_31 Depth=3
                                        ; implicit-def: $vgpr26
	v_add_u32_e32 v29, v24, v9
	s_branch .LBB14_33
.LBB14_47:                              ;   in Loop: Header=BB14_31 Depth=3
                                        ; implicit-def: $vgpr28
	s_branch .LBB14_36
.LBB14_48:                              ;   in Loop: Header=BB14_16 Depth=1
	s_or_b64 exec, exec, s[52:53]
.LBB14_49:                              ;   in Loop: Header=BB14_16 Depth=1
	v_subrev_u32_e32 v24, s34, v37
	v_add_u32_e32 v14, 1, v17
	v_cmp_lt_i32_e32 vcc, v14, v24
	s_and_saveexec_b64 s[0:1], vcc
	s_cbranch_execz .LBB14_14
; %bb.50:                               ;   in Loop: Header=BB14_16 Depth=1
	v_mul_lo_u32 v26, s61, v14
	s_mov_b64 s[12:13], 0
	s_branch .LBB14_53
.LBB14_51:                              ;   in Loop: Header=BB14_53 Depth=2
	s_or_b64 exec, exec, s[52:53]
.LBB14_52:                              ;   in Loop: Header=BB14_53 Depth=2
	v_add_u32_e32 v14, 1, v14
	v_cmp_ge_i32_e32 vcc, v14, v24
	s_or_b64 s[12:13], vcc, s[12:13]
	v_add_u32_e32 v26, s61, v26
	s_andn2_b64 exec, exec, s[12:13]
	s_cbranch_execz .LBB14_14
.LBB14_53:                              ;   Parent Loop BB14_16 Depth=1
                                        ; =>  This Loop Header: Depth=2
                                        ;       Child Loop BB14_58 Depth 3
                                        ;       Child Loop BB14_65 Depth 3
                                        ;         Child Loop BB14_67 Depth 4
                                        ;           Child Loop BB14_69 Depth 5
	v_ashrrev_i32_e32 v15, 31, v14
	s_waitcnt lgkmcnt(0)
	v_lshl_add_u64 v[16:17], v[14:15], 2, s[18:19]
	global_load_dword v15, v[16:17], off
	v_mov_b32_e32 v17, s37
	s_and_saveexec_b64 s[52:53], s[6:7]
	s_cbranch_execz .LBB14_55
; %bb.54:                               ;   in Loop: Header=BB14_53 Depth=2
	global_load_dword v16, v[12:13], off
	s_waitcnt vmcnt(0)
	v_subrev_u32_e32 v17, s34, v16
.LBB14_55:                              ;   in Loop: Header=BB14_53 Depth=2
	s_or_b64 exec, exec, s[52:53]
	s_waitcnt vmcnt(0)
	v_subrev_u32_e32 v15, s34, v15
	v_cmp_lt_i32_e32 vcc, v17, v15
	v_mov_b32_e32 v18, v10
	s_and_saveexec_b64 s[52:53], vcc
	s_cbranch_execz .LBB14_61
; %bb.56:                               ;   in Loop: Header=BB14_53 Depth=2
	s_mov_b64 s[54:55], 0
	v_mov_b32_e32 v16, v10
	s_branch .LBB14_58
.LBB14_57:                              ;   in Loop: Header=BB14_58 Depth=3
	s_or_b64 exec, exec, s[56:57]
	v_cmp_ge_i32_e32 vcc, v17, v15
	s_or_b64 s[54:55], vcc, s[54:55]
	v_mov_b32_e32 v16, v18
	s_andn2_b64 exec, exec, s[54:55]
	s_cbranch_execz .LBB14_60
.LBB14_58:                              ;   Parent Loop BB14_16 Depth=1
                                        ;     Parent Loop BB14_53 Depth=2
                                        ; =>    This Inner Loop Header: Depth=3
	v_add_u32_e32 v18, 64, v16
	v_cmp_lt_i32_e32 vcc, v18, v1
	v_mov_b32_e32 v17, s37
	s_and_saveexec_b64 s[56:57], vcc
	s_cbranch_execz .LBB14_57
; %bb.59:                               ;   in Loop: Header=BB14_58 Depth=3
	v_ashrrev_i32_e32 v17, 31, v16
	v_lshl_add_u64 v[16:17], v[16:17], 2, s[18:19]
	global_load_dword v16, v[16:17], off offset:256
	s_waitcnt vmcnt(0)
	v_subrev_u32_e32 v17, s34, v16
	s_branch .LBB14_57
.LBB14_60:                              ;   in Loop: Header=BB14_53 Depth=2
	s_or_b64 exec, exec, s[54:55]
.LBB14_61:                              ;   in Loop: Header=BB14_53 Depth=2
	s_or_b64 exec, exec, s[52:53]
	v_cmp_eq_u32_e32 vcc, v17, v15
	s_cbranch_vccz .LBB14_52
; %bb.62:                               ;   in Loop: Header=BB14_53 Depth=2
	s_ff1_i32_b64 s52, vcc
	v_and_or_b32 v15, v36, 64, s52
	v_lshlrev_b32_e32 v15, 2, v15
	ds_bpermute_b32 v16, v15, v18
	s_and_saveexec_b64 s[52:53], s[2:3]
	s_cbranch_execz .LBB14_51
; %bb.63:                               ;   in Loop: Header=BB14_53 Depth=2
	v_mul_lo_u32 v15, v14, s33
	s_waitcnt lgkmcnt(0)
	v_mul_lo_u32 v17, v16, s33
	s_mov_b64 s[54:55], 0
	v_mov_b32_e32 v27, v5
	v_mov_b32_e32 v16, v0
	s_branch .LBB14_65
.LBB14_64:                              ;   in Loop: Header=BB14_65 Depth=3
	v_add_u32_e32 v16, 64, v16
	v_cmp_le_i32_e32 vcc, s33, v16
	s_or_b64 s[54:55], vcc, s[54:55]
	v_add_u32_e32 v27, s63, v27
	s_andn2_b64 exec, exec, s[54:55]
	s_cbranch_execz .LBB14_51
.LBB14_65:                              ;   Parent Loop BB14_16 Depth=1
                                        ;     Parent Loop BB14_53 Depth=2
                                        ; =>    This Loop Header: Depth=3
                                        ;         Child Loop BB14_67 Depth 4
                                        ;           Child Loop BB14_69 Depth 5
	v_add_u32_e32 v18, v16, v17
	v_mul_lo_u32 v28, v18, s33
	s_mov_b32 s58, 0
	v_mov_b32_e32 v29, v26
	s_branch .LBB14_67
.LBB14_66:                              ;   in Loop: Header=BB14_67 Depth=4
	v_ashrrev_i32_e32 v21, 31, v20
	v_lshl_add_u64 v[20:21], v[20:21], 3, s[20:21]
	global_load_dwordx2 v[22:23], v[20:21], off
	s_add_i32 s58, s58, 1
	s_cmp_eq_u32 s58, s33
	v_add_u32_e32 v29, 1, v29
	s_waitcnt vmcnt(0)
	v_pk_add_f32 v[18:19], v[22:23], v[18:19] neg_lo:[0,1] neg_hi:[0,1]
	global_store_dwordx2 v[20:21], v[18:19], off
	s_cbranch_scc1 .LBB14_64
.LBB14_67:                              ;   Parent Loop BB14_16 Depth=1
                                        ;     Parent Loop BB14_53 Depth=2
                                        ;       Parent Loop BB14_65 Depth=3
                                        ; =>      This Loop Header: Depth=4
                                        ;           Child Loop BB14_69 Depth 5
	v_add_u32_e32 v18, s58, v15
	v_mul_lo_u32 v30, v18, s33
	v_mov_b32_e32 v18, 0
	v_mov_b32_e32 v31, v29
	s_mov_b32 s59, 0
	v_mov_b32_e32 v19, v18
	s_branch .LBB14_69
.LBB14_68:                              ;   in Loop: Header=BB14_69 Depth=5
	v_ashrrev_i32_e32 v23, 31, v22
	v_lshl_add_u64 v[22:23], v[22:23], 3, s[20:21]
	global_load_dwordx2 v[22:23], v[22:23], off
	s_waitcnt vmcnt(1)
	v_xor_b32_e32 v32, 0x80000000, v21
	v_mov_b32_e32 v33, v20
	s_add_i32 s59, s59, 1
	s_cmp_eq_u32 s33, s59
	v_add_u32_e32 v31, s33, v31
	s_waitcnt vmcnt(0)
	v_pk_fma_f32 v[18:19], v[20:21], v[22:23], v[18:19] op_sel_hi:[1,0,1]
	s_nop 0
	v_pk_fma_f32 v[18:19], v[32:33], v[22:23], v[18:19] op_sel:[0,1,0]
	s_cbranch_scc1 .LBB14_75
.LBB14_69:                              ;   Parent Loop BB14_16 Depth=1
                                        ;     Parent Loop BB14_53 Depth=2
                                        ;       Parent Loop BB14_65 Depth=3
                                        ;         Parent Loop BB14_67 Depth=4
                                        ; =>        This Inner Loop Header: Depth=5
	s_and_b64 vcc, exec, s[40:41]
	s_cbranch_vccz .LBB14_74
; %bb.70:                               ;   in Loop: Header=BB14_69 Depth=5
	v_add_u32_e32 v20, s59, v9
	v_mad_u64_u32 v[20:21], s[56:57], v20, s33, v[16:17]
	s_cbranch_execnz .LBB14_72
.LBB14_71:                              ;   in Loop: Header=BB14_69 Depth=5
	v_add_u32_e32 v20, s59, v27
.LBB14_72:                              ;   in Loop: Header=BB14_69 Depth=5
	v_ashrrev_i32_e32 v21, 31, v20
	v_lshl_add_u64 v[20:21], v[20:21], 3, s[20:21]
	global_load_dwordx2 v[20:21], v[20:21], off
	s_andn2_b64 vcc, exec, s[40:41]
	v_mov_b32_e32 v22, v31
	s_cbranch_vccnz .LBB14_68
; %bb.73:                               ;   in Loop: Header=BB14_69 Depth=5
	v_add_u32_e32 v22, s59, v30
	s_branch .LBB14_68
.LBB14_74:                              ;   in Loop: Header=BB14_69 Depth=5
                                        ; implicit-def: $vgpr20
	s_branch .LBB14_71
.LBB14_75:                              ;   in Loop: Header=BB14_67 Depth=4
	s_and_b64 vcc, exec, s[40:41]
	s_cbranch_vccz .LBB14_77
; %bb.76:                               ;   in Loop: Header=BB14_67 Depth=4
	v_add_u32_e32 v20, s58, v17
	v_mad_u64_u32 v[20:21], s[56:57], v20, s33, v[16:17]
	s_cbranch_execnz .LBB14_66
	s_branch .LBB14_78
.LBB14_77:                              ;   in Loop: Header=BB14_67 Depth=4
                                        ; implicit-def: $vgpr20
.LBB14_78:                              ;   in Loop: Header=BB14_67 Depth=4
	v_add_u32_e32 v20, s58, v28
	s_branch .LBB14_66
.LBB14_79:
	s_or_b64 exec, exec, s[42:43]
	s_and_b64 s[6:7], s[44:45], exec
.LBB14_80:
	s_or_b64 exec, exec, s[38:39]
	v_ashrrev_i32_e32 v5, 31, v4
	v_lshl_add_u64 v[8:9], v[4:5], 2, s[18:19]
	global_load_dword v5, v[8:9], off
	s_waitcnt lgkmcnt(0)
	s_cmp_gt_i32 s33, 0
	s_cselect_b64 s[8:9], -1, 0
	s_waitcnt vmcnt(0)
	v_subrev_u32_e32 v5, s34, v5
	v_cmp_eq_u32_e32 vcc, v5, v2
	s_and_b64 s[0:1], s[8:9], vcc
	s_and_saveexec_b64 s[10:11], s[0:1]
	s_cbranch_execz .LBB14_120
; %bb.81:
	s_cmp_eq_u64 s[24:25], 8
	v_cvt_f64_f32_e32 v[8:9], v25
	s_cselect_b64 vcc, -1, 0
	s_mul_i32 s0, s33, s33
	v_cndmask_b32_e32 v7, v9, v7, vcc
	v_cndmask_b32_e32 v6, v8, v6, vcc
	v_mul_lo_u32 v5, v4, s33
	v_mad_u64_u32 v[8:9], s[0:1], v4, s0, 1
	s_cmp_lg_u32 s36, 0
	v_add_u32_e32 v9, v5, v0
	s_cselect_b64 s[12:13], -1, 0
	s_add_i32 s37, s33, 1
	v_mul_lo_u32 v9, s33, v9
	v_cmp_eq_u32_e64 s[2:3], 0, v0
	v_add_u32_e32 v9, s37, v9
	s_lshl_b32 s46, s33, 6
	s_add_i32 s47, s33, -1
	v_mov_b32_e32 v10, 0
	s_mov_b64 s[16:17], 0
	s_mov_b32 s48, 0xf800000
	v_mov_b32_e32 v11, 0x260
	s_brev_b32 s49, -2
	s_mov_b64 s[22:23], s[6:7]
                                        ; implicit-def: $sgpr18_sgpr19
	s_branch .LBB14_83
.LBB14_82:                              ;   in Loop: Header=BB14_83 Depth=1
	s_or_b64 exec, exec, s[0:1]
	s_add_i32 s47, s47, -1
	s_waitcnt vmcnt(0)
	v_cmp_eq_u32_e32 vcc, s33, v15
	s_or_b64 s[16:17], vcc, s[16:17]
	s_andn2_b64 s[0:1], s[18:19], exec
	s_and_b64 s[4:5], s[22:23], exec
	v_add_u32_e32 v8, s37, v8
	v_add_u32_e32 v9, s37, v9
	s_or_b64 s[18:19], s[0:1], s[4:5]
	v_mov_b32_e32 v10, v15
	s_andn2_b64 exec, exec, s[16:17]
	s_cbranch_execz .LBB14_119
.LBB14_83:                              ; =>This Loop Header: Depth=1
                                        ;     Child Loop BB14_99 Depth 2
                                        ;       Child Loop BB14_108 Depth 3
	v_add_u32_e32 v12, v10, v5
	v_mul_lo_u32 v30, v12, s33
	v_add_u32_e32 v12, v30, v10
	v_ashrrev_i32_e32 v13, 31, v12
	v_lshl_add_u64 v[16:17], v[12:13], 3, s[20:21]
	global_load_dwordx2 v[14:15], v[16:17], off
	s_mov_b64 s[4:5], -1
	s_and_b64 vcc, exec, s[14:15]
	s_mov_b64 s[0:1], 0
                                        ; implicit-def: $vgpr12_vgpr13
	s_cbranch_vccz .LBB14_86
; %bb.84:                               ;   in Loop: Header=BB14_83 Depth=1
	s_mov_b64 s[24:25], 0
	s_and_b64 vcc, exec, s[4:5]
	s_cbranch_vccnz .LBB14_95
.LBB14_85:                              ;   in Loop: Header=BB14_83 Depth=1
                                        ; implicit-def: $vgpr15
	s_and_saveexec_b64 s[4:5], s[0:1]
	s_xor_b64 s[38:39], exec, s[4:5]
	s_cbranch_execnz .LBB14_96
	s_branch .LBB14_117
.LBB14_86:                              ;   in Loop: Header=BB14_83 Depth=1
	s_waitcnt vmcnt(0)
	v_cmp_gt_f32_e32 vcc, 0, v14
                                        ; implicit-def: $vgpr18
	s_nop 1
	v_cndmask_b32_e64 v12, v14, -v14, vcc
	v_cmp_gt_f32_e32 vcc, 0, v15
	s_nop 1
	v_cndmask_b32_e64 v13, v15, -v15, vcc
	v_cmp_ngt_f32_e32 vcc, v12, v13
	s_and_saveexec_b64 s[0:1], vcc
	s_xor_b64 s[4:5], exec, s[0:1]
	s_cbranch_execz .LBB14_90
; %bb.87:                               ;   in Loop: Header=BB14_83 Depth=1
	v_mov_b32_e32 v18, 0
	v_cmp_neq_f32_e32 vcc, 0, v15
	s_and_saveexec_b64 s[24:25], vcc
	s_cbranch_execz .LBB14_89
; %bb.88:                               ;   in Loop: Header=BB14_83 Depth=1
	v_div_scale_f32 v18, s[0:1], v13, v13, v12
	v_rcp_f32_e32 v19, v18
	v_div_scale_f32 v20, vcc, v12, v13, v12
	v_fma_f32 v21, -v18, v19, 1.0
	v_fmac_f32_e32 v19, v21, v19
	v_mul_f32_e32 v21, v20, v19
	v_fma_f32 v22, -v18, v21, v20
	v_fmac_f32_e32 v21, v22, v19
	v_fma_f32 v18, -v18, v21, v20
	v_div_fmas_f32 v18, v18, v19, v21
	v_div_fixup_f32 v12, v18, v13, v12
	v_fma_f32 v12, v12, v12, 1.0
	v_mul_f32_e32 v18, 0x4f800000, v12
	v_cmp_gt_f32_e32 vcc, s48, v12
	s_nop 1
	v_cndmask_b32_e32 v12, v12, v18, vcc
	v_sqrt_f32_e32 v18, v12
	s_nop 0
	v_add_u32_e32 v19, -1, v18
	v_fma_f32 v20, -v19, v18, v12
	v_cmp_ge_f32_e64 s[0:1], 0, v20
	v_add_u32_e32 v20, 1, v18
	s_nop 0
	v_cndmask_b32_e64 v19, v18, v19, s[0:1]
	v_fma_f32 v18, -v20, v18, v12
	v_cmp_lt_f32_e64 s[0:1], 0, v18
	s_nop 1
	v_cndmask_b32_e64 v18, v19, v20, s[0:1]
	v_mul_f32_e32 v19, 0x37800000, v18
	v_cndmask_b32_e32 v18, v18, v19, vcc
	v_cmp_class_f32_e32 vcc, v12, v11
	s_nop 1
	v_cndmask_b32_e32 v12, v18, v12, vcc
	v_mul_f32_e32 v18, v13, v12
.LBB14_89:                              ;   in Loop: Header=BB14_83 Depth=1
	s_or_b64 exec, exec, s[24:25]
                                        ; implicit-def: $vgpr12
                                        ; implicit-def: $vgpr13
.LBB14_90:                              ;   in Loop: Header=BB14_83 Depth=1
	s_andn2_saveexec_b64 s[4:5], s[4:5]
	s_cbranch_execz .LBB14_92
; %bb.91:                               ;   in Loop: Header=BB14_83 Depth=1
	v_div_scale_f32 v18, s[0:1], v12, v12, v13
	v_rcp_f32_e32 v19, v18
	v_div_scale_f32 v20, vcc, v13, v12, v13
	v_fma_f32 v21, -v18, v19, 1.0
	v_fmac_f32_e32 v19, v21, v19
	v_mul_f32_e32 v21, v20, v19
	v_fma_f32 v22, -v18, v21, v20
	v_fmac_f32_e32 v21, v22, v19
	v_fma_f32 v18, -v18, v21, v20
	v_div_fmas_f32 v18, v18, v19, v21
	v_div_fixup_f32 v13, v18, v12, v13
	v_fma_f32 v13, v13, v13, 1.0
	v_mul_f32_e32 v18, 0x4f800000, v13
	v_cmp_gt_f32_e32 vcc, s48, v13
	s_nop 1
	v_cndmask_b32_e32 v13, v13, v18, vcc
	v_sqrt_f32_e32 v18, v13
	s_nop 0
	v_add_u32_e32 v19, -1, v18
	v_fma_f32 v20, -v19, v18, v13
	v_cmp_ge_f32_e64 s[0:1], 0, v20
	v_add_u32_e32 v20, 1, v18
	s_nop 0
	v_cndmask_b32_e64 v19, v18, v19, s[0:1]
	v_fma_f32 v18, -v20, v18, v13
	v_cmp_lt_f32_e64 s[0:1], 0, v18
	s_nop 1
	v_cndmask_b32_e64 v18, v19, v20, s[0:1]
	v_mul_f32_e32 v19, 0x37800000, v18
	v_cndmask_b32_e32 v18, v18, v19, vcc
	v_cmp_class_f32_e32 vcc, v13, v11
	s_nop 1
	v_cndmask_b32_e32 v13, v18, v13, vcc
	v_mul_f32_e32 v18, v12, v13
.LBB14_92:                              ;   in Loop: Header=BB14_83 Depth=1
	s_or_b64 exec, exec, s[4:5]
	v_cvt_f64_f32_e32 v[12:13], v18
	v_mov_b32_e32 v18, s60
	v_cmp_ge_f64_e32 vcc, v[6:7], v[12:13]
	v_mov_b32_e32 v13, s35
	s_nop 0
	v_cndmask_b32_e32 v12, v15, v18, vcc
	v_cndmask_b32_e32 v13, v14, v13, vcc
	s_and_saveexec_b64 s[0:1], s[2:3]
	s_cbranch_execz .LBB14_94
; %bb.93:                               ;   in Loop: Header=BB14_83 Depth=1
	v_mov_b32_e32 v18, v13
	v_mov_b32_e32 v19, v12
	global_store_dwordx2 v[16:17], v[18:19], off
.LBB14_94:                              ;   in Loop: Header=BB14_83 Depth=1
	s_or_b64 exec, exec, s[0:1]
	s_mov_b64 s[0:1], -1
	s_mov_b64 s[24:25], 0
	s_branch .LBB14_85
.LBB14_95:                              ;   in Loop: Header=BB14_83 Depth=1
	s_waitcnt vmcnt(0)
	v_mov_b32_e32 v13, v14
	v_bitop3_b32 v14, v14, s49, v15 bitop3:0xc8
	v_cmp_ne_u32_e32 vcc, 0, v14
	s_andn2_b64 s[0:1], s[0:1], exec
	s_and_b64 s[4:5], vcc, exec
	v_mov_b32_e32 v12, v15
	s_mov_b64 s[24:25], -1
	s_or_b64 s[0:1], s[0:1], s[4:5]
                                        ; implicit-def: $vgpr15
	s_and_saveexec_b64 s[4:5], s[0:1]
	s_xor_b64 s[38:39], exec, s[4:5]
	s_cbranch_execz .LBB14_117
.LBB14_96:                              ;   in Loop: Header=BB14_83 Depth=1
	s_waitcnt vmcnt(0)
	v_add_u32_e32 v15, 1, v10
	v_add_u32_e32 v14, v15, v0
	v_cmp_gt_i32_e32 vcc, s33, v14
	s_and_saveexec_b64 s[40:41], vcc
	s_cbranch_execz .LBB14_116
; %bb.97:                               ;   in Loop: Header=BB14_83 Depth=1
	v_mul_f32_e32 v16, v12, v12
	v_fmac_f32_e32 v16, v13, v13
	v_div_scale_f32 v17, s[0:1], v16, v16, 1.0
	v_rcp_f32_e32 v18, v17
	v_div_scale_f32 v19, vcc, 1.0, v16, 1.0
	v_cmp_gt_i32_e64 s[4:5], s33, v15
	v_fma_f32 v20, -v17, v18, 1.0
	v_fmac_f32_e32 v18, v20, v18
	v_mul_f32_e32 v20, v19, v18
	v_fma_f32 v21, -v17, v20, v19
	v_fmac_f32_e32 v20, v21, v18
	v_fma_f32 v17, -v17, v20, v19
	v_div_fmas_f32 v17, v17, v18, v20
	v_div_fixup_f32 v16, v17, v16, 1.0
	v_mov_b32_e32 v17, v16
	v_mov_b32_e32 v18, v12
	;; [unrolled: 1-line block ×4, first 2 shown]
	s_mov_b64 s[42:43], 0
	v_mov_b32_e32 v31, v9
	s_branch .LBB14_99
.LBB14_98:                              ;   in Loop: Header=BB14_99 Depth=2
	s_or_b64 exec, exec, s[44:45]
	v_add_u32_e32 v14, 64, v14
	v_cmp_le_i32_e32 vcc, s33, v14
	s_or_b64 s[42:43], vcc, s[42:43]
	v_add_u32_e32 v31, s46, v31
	s_andn2_b64 exec, exec, s[42:43]
	s_cbranch_execz .LBB14_116
.LBB14_99:                              ;   Parent Loop BB14_83 Depth=1
                                        ; =>  This Loop Header: Depth=2
                                        ;       Child Loop BB14_108 Depth 3
	s_and_b64 vcc, exec, s[12:13]
	v_add_u32_e32 v22, v14, v30
	s_cbranch_vccz .LBB14_114
; %bb.100:                              ;   in Loop: Header=BB14_99 Depth=2
	v_add_u32_e32 v20, v14, v30
	s_cbranch_execnz .LBB14_102
.LBB14_101:                             ;   in Loop: Header=BB14_99 Depth=2
	v_add_u32_e32 v20, v14, v5
	v_mad_u64_u32 v[20:21], s[0:1], v20, s33, v[10:11]
.LBB14_102:                             ;   in Loop: Header=BB14_99 Depth=2
	v_ashrrev_i32_e32 v21, 31, v20
	v_lshl_add_u64 v[20:21], v[20:21], 3, s[20:21]
	global_load_dwordx2 v[20:21], v[20:21], off
	s_and_b64 vcc, exec, s[12:13]
	s_cbranch_vccz .LBB14_115
; %bb.103:                              ;   in Loop: Header=BB14_99 Depth=2
	s_cbranch_execnz .LBB14_105
.LBB14_104:                             ;   in Loop: Header=BB14_99 Depth=2
	v_add_u32_e32 v22, v14, v5
	v_mad_u64_u32 v[22:23], s[0:1], v22, s33, v[10:11]
.LBB14_105:                             ;   in Loop: Header=BB14_99 Depth=2
	s_waitcnt vmcnt(0)
	v_xor_b32_e32 v25, 0x80000000, v20
	v_mov_b32_e32 v24, v21
	v_pk_mul_f32 v[24:25], v[18:19], v[24:25]
	v_ashrrev_i32_e32 v23, 31, v22
	v_pk_fma_f32 v[20:21], v[20:21], v[12:13], v[24:25]
	v_lshl_add_u64 v[22:23], v[22:23], 3, s[20:21]
	v_pk_mul_f32 v[20:21], v[16:17], v[20:21]
	global_store_dwordx2 v[22:23], v[20:21], off
	s_and_saveexec_b64 s[44:45], s[4:5]
	s_cbranch_execz .LBB14_98
; %bb.106:                              ;   in Loop: Header=BB14_99 Depth=2
	v_pk_add_f32 v[22:23], v[20:21], 0 neg_lo:[1,1] neg_hi:[1,1]
	s_mov_b32 s50, s47
	v_pk_mov_b32 v[22:23], v[20:21], v[22:23] op_sel:[1,0]
	v_mov_b32_e32 v32, v31
	v_mov_b32_e32 v33, v8
	;; [unrolled: 1-line block ×3, first 2 shown]
	s_branch .LBB14_108
.LBB14_107:                             ;   in Loop: Header=BB14_108 Depth=3
	s_waitcnt vmcnt(0)
	v_pk_fma_f32 v[28:29], v[20:21], v[24:25], v[28:29] op_sel_hi:[1,0,1] neg_lo:[1,0,0] neg_hi:[1,0,0]
	v_ashrrev_i32_e32 v27, 31, v26
	s_add_i32 s50, s50, -1
	v_pk_fma_f32 v[24:25], v[22:23], v[24:25], v[28:29] op_sel:[0,1,0]
	v_lshl_add_u64 v[26:27], v[26:27], 3, s[20:21]
	v_add_u32_e32 v34, 1, v34
	v_add_u32_e32 v33, 1, v33
	s_cmp_eq_u32 s50, 0
	v_add_u32_e32 v32, 1, v32
	global_store_dwordx2 v[26:27], v[24:25], off
	s_cbranch_scc1 .LBB14_98
.LBB14_108:                             ;   Parent Loop BB14_83 Depth=1
                                        ;     Parent Loop BB14_99 Depth=2
                                        ; =>    This Inner Loop Header: Depth=3
	v_cndmask_b32_e64 v24, 0, 1, s[12:13]
	v_cmp_ne_u32_e64 s[0:1], 1, v24
	s_andn2_b64 vcc, exec, s[12:13]
	v_add_u32_e32 v35, v34, v5
	v_mov_b32_e32 v24, v33
	s_cbranch_vccnz .LBB14_110
; %bb.109:                              ;   in Loop: Header=BB14_108 Depth=3
	v_mad_u64_u32 v[24:25], s[52:53], v35, s33, v[10:11]
.LBB14_110:                             ;   in Loop: Header=BB14_108 Depth=3
	v_ashrrev_i32_e32 v25, 31, v24
	v_lshl_add_u64 v[24:25], v[24:25], 3, s[20:21]
	global_load_dwordx2 v[24:25], v[24:25], off
	s_and_b64 vcc, exec, s[0:1]
	v_mov_b32_e32 v26, v32
	s_cbranch_vccnz .LBB14_112
; %bb.111:                              ;   in Loop: Header=BB14_108 Depth=3
	v_mad_u64_u32 v[26:27], s[52:53], v35, s33, v[14:15]
.LBB14_112:                             ;   in Loop: Header=BB14_108 Depth=3
	v_ashrrev_i32_e32 v27, 31, v26
	v_lshl_add_u64 v[26:27], v[26:27], 3, s[20:21]
	global_load_dwordx2 v[28:29], v[26:27], off
	s_and_b64 vcc, exec, s[0:1]
	v_mov_b32_e32 v26, v32
	s_cbranch_vccnz .LBB14_107
; %bb.113:                              ;   in Loop: Header=BB14_108 Depth=3
	v_mad_u64_u32 v[26:27], s[0:1], v35, s33, v[14:15]
	s_branch .LBB14_107
.LBB14_114:                             ;   in Loop: Header=BB14_99 Depth=2
                                        ; implicit-def: $vgpr20
	s_branch .LBB14_101
.LBB14_115:                             ;   in Loop: Header=BB14_99 Depth=2
                                        ; implicit-def: $vgpr22
	s_branch .LBB14_104
.LBB14_116:                             ;   in Loop: Header=BB14_83 Depth=1
	s_or_b64 exec, exec, s[40:41]
	s_andn2_b64 s[24:25], s[24:25], exec
.LBB14_117:                             ;   in Loop: Header=BB14_83 Depth=1
	s_or_b64 exec, exec, s[38:39]
	s_andn2_b64 s[0:1], s[22:23], exec
	s_and_b64 s[4:5], s[22:23], exec
	s_or_b64 s[22:23], s[0:1], s[4:5]
	s_and_saveexec_b64 s[0:1], s[24:25]
	s_cbranch_execz .LBB14_82
; %bb.118:                              ;   in Loop: Header=BB14_83 Depth=1
	s_waitcnt vmcnt(0)
	v_add_u32_e32 v15, 1, v10
	s_or_b64 s[22:23], s[22:23], exec
	s_branch .LBB14_82
.LBB14_119:
	s_or_b64 exec, exec, s[16:17]
	s_andn2_b64 s[0:1], s[6:7], exec
	s_and_b64 s[2:3], s[18:19], exec
	s_or_b64 s[6:7], s[0:1], s[2:3]
.LBB14_120:
	s_or_b64 exec, exec, s[10:11]
	v_add_u32_e32 v12, 1, v4
	v_cmp_lt_i32_e32 vcc, v12, v1
	s_and_saveexec_b64 s[10:11], vcc
	s_cbranch_execz .LBB14_144
; %bb.121:
	v_mul_lo_u32 v13, v4, s33
	v_mul_lo_u32 v4, s33, v13
	s_mul_i32 s23, s33, s33
	v_add_u32_e32 v14, s33, v4
	v_mul_lo_u32 v4, s23, v12
	s_cmp_lg_u32 s36, 0
	v_add3_u32 v15, v4, s33, v0
	v_cndmask_b32_e64 v4, 0, 1, s[8:9]
	v_cmp_gt_i32_e64 s[0:1], s33, v0
	s_cselect_b64 s[12:13], -1, 0
	s_add_i32 s22, s33, 1
	s_add_i32 s24, s33, -1
	s_mov_b64 s[14:15], 0
	v_cmp_ne_u32_e64 s[2:3], 1, v4
	s_branch .LBB14_123
.LBB14_122:                             ;   in Loop: Header=BB14_123 Depth=1
	v_add_u32_e32 v12, 1, v12
	v_cmp_ge_i32_e32 vcc, v12, v1
	s_or_b64 s[14:15], vcc, s[14:15]
	v_add_u32_e32 v15, s23, v15
	s_andn2_b64 exec, exec, s[14:15]
	s_cbranch_execz .LBB14_144
.LBB14_123:                             ; =>This Loop Header: Depth=1
                                        ;     Child Loop BB14_126 Depth 2
                                        ;       Child Loop BB14_129 Depth 3
                                        ;         Child Loop BB14_132 Depth 4
	s_and_b64 vcc, exec, s[2:3]
	s_cbranch_vccnz .LBB14_122
; %bb.124:                              ;   in Loop: Header=BB14_123 Depth=1
	v_mul_lo_u32 v16, v12, s33
	s_mov_b32 s35, 0
	s_mov_b32 s25, s24
	v_mov_b32_e32 v17, v15
	v_mov_b32_e32 v18, v14
	s_branch .LBB14_126
.LBB14_125:                             ;   in Loop: Header=BB14_126 Depth=2
	s_or_b64 exec, exec, s[8:9]
	s_add_i32 s25, s25, -1
	v_add_u32_e32 v18, s22, v18
	v_add_u32_e32 v17, s33, v17
	s_cmp_eq_u32 s36, s33
	s_mov_b32 s35, s36
	s_cbranch_scc1 .LBB14_122
.LBB14_126:                             ;   Parent Loop BB14_123 Depth=1
                                        ; =>  This Loop Header: Depth=2
                                        ;       Child Loop BB14_129 Depth 3
                                        ;         Child Loop BB14_132 Depth 4
	s_add_i32 s36, s35, 1
	s_and_saveexec_b64 s[8:9], s[0:1]
	s_cbranch_execz .LBB14_125
; %bb.127:                              ;   in Loop: Header=BB14_126 Depth=2
	s_cmp_lt_i32 s36, s33
	v_add_u32_e32 v4, s35, v13
	v_mul_lo_u32 v19, v4, s33
	v_add_u32_e32 v4, s35, v16
	s_cselect_b64 s[4:5], -1, 0
	v_mul_lo_u32 v20, v4, s33
	v_cndmask_b32_e64 v4, 0, 1, s[4:5]
	s_mov_b64 s[16:17], 0
	v_cmp_ne_u32_e64 s[4:5], 1, v4
	v_mov_b32_e32 v21, v17
	v_mov_b32_e32 v22, v0
	s_branch .LBB14_129
.LBB14_128:                             ;   in Loop: Header=BB14_129 Depth=3
	v_add_u32_e32 v22, 64, v22
	v_cmp_le_i32_e32 vcc, s33, v22
	s_or_b64 s[16:17], vcc, s[16:17]
	v_add_u32_e32 v21, 64, v21
	s_andn2_b64 exec, exec, s[16:17]
	s_cbranch_execz .LBB14_125
.LBB14_129:                             ;   Parent Loop BB14_123 Depth=1
                                        ;     Parent Loop BB14_126 Depth=2
                                        ; =>    This Loop Header: Depth=3
                                        ;         Child Loop BB14_132 Depth 4
	s_and_b64 vcc, exec, s[4:5]
	s_cbranch_vccnz .LBB14_128
; %bb.130:                              ;   in Loop: Header=BB14_129 Depth=3
	v_add_u32_e32 v4, v22, v16
	v_mul_lo_u32 v23, v4, s33
	v_add_u32_e32 v24, s35, v23
	v_add_u32_e32 v25, v22, v20
	s_mov_b32 s37, 0
	s_mov_b32 s38, s25
	;; [unrolled: 1-line block ×3, first 2 shown]
	s_branch .LBB14_132
.LBB14_131:                             ;   in Loop: Header=BB14_132 Depth=4
	s_waitcnt vmcnt(2)
	v_pk_add_f32 v[26:27], v[4:5], 0 neg_lo:[1,1] neg_hi:[1,1]
	s_waitcnt vmcnt(0)
	v_pk_fma_f32 v[10:11], v[4:5], v[6:7], v[10:11] op_sel_hi:[1,0,1] neg_lo:[1,0,0] neg_hi:[1,0,0]
	v_pk_mov_b32 v[4:5], v[4:5], v[26:27] op_sel:[1,0]
	v_ashrrev_i32_e32 v9, 31, v8
	s_add_i32 s39, s39, 1
	s_add_i32 s37, s37, s33
	s_add_i32 s38, s38, -1
	v_pk_fma_f32 v[4:5], v[4:5], v[6:7], v[10:11] op_sel:[0,1,0]
	v_lshl_add_u64 v[6:7], v[8:9], 3, s[20:21]
	s_cmp_eq_u32 s38, 0
	global_store_dwordx2 v[6:7], v[4:5], off
	s_cbranch_scc1 .LBB14_128
.LBB14_132:                             ;   Parent Loop BB14_123 Depth=1
                                        ;     Parent Loop BB14_126 Depth=2
                                        ;       Parent Loop BB14_129 Depth=3
                                        ; =>      This Inner Loop Header: Depth=4
	s_and_b64 vcc, exec, s[12:13]
	s_cbranch_vccz .LBB14_140
; %bb.133:                              ;   in Loop: Header=BB14_132 Depth=4
	v_add_u32_e32 v4, s39, v19
	v_mov_b32_e32 v6, v24
	s_cbranch_execnz .LBB14_135
.LBB14_134:                             ;   in Loop: Header=BB14_132 Depth=4
	v_add_u32_e32 v4, s37, v18
	v_mov_b32_e32 v6, v25
.LBB14_135:                             ;   in Loop: Header=BB14_132 Depth=4
	v_ashrrev_i32_e32 v5, 31, v4
	v_lshl_add_u64 v[8:9], v[4:5], 3, s[20:21]
	v_ashrrev_i32_e32 v7, 31, v6
	v_lshl_add_u64 v[10:11], v[6:7], 3, s[20:21]
	global_load_dwordx2 v[4:5], v[8:9], off
	global_load_dwordx2 v[6:7], v[10:11], off
	s_and_b64 vcc, exec, s[12:13]
	v_add_u32_e32 v8, s39, v23
	s_cbranch_vccz .LBB14_141
; %bb.136:                              ;   in Loop: Header=BB14_132 Depth=4
	v_add_u32_e32 v10, s39, v23
	v_add_u32_e32 v9, s37, v21
	s_cbranch_execnz .LBB14_138
.LBB14_137:                             ;   in Loop: Header=BB14_132 Depth=4
	v_add_u32_e32 v10, s37, v21
.LBB14_138:                             ;   in Loop: Header=BB14_132 Depth=4
	v_ashrrev_i32_e32 v11, 31, v10
	v_lshl_add_u64 v[10:11], v[10:11], 3, s[20:21]
	global_load_dwordx2 v[10:11], v[10:11], off
	s_and_b64 vcc, exec, s[12:13]
	s_cbranch_vccz .LBB14_142
; %bb.139:                              ;   in Loop: Header=BB14_132 Depth=4
	s_cbranch_execnz .LBB14_131
	s_branch .LBB14_143
.LBB14_140:                             ;   in Loop: Header=BB14_132 Depth=4
                                        ; implicit-def: $vgpr4
	v_mov_b32_e32 v6, v24
	s_branch .LBB14_134
.LBB14_141:                             ;   in Loop: Header=BB14_132 Depth=4
                                        ; implicit-def: $vgpr10
	v_add_u32_e32 v9, s37, v21
	s_branch .LBB14_137
.LBB14_142:                             ;   in Loop: Header=BB14_132 Depth=4
                                        ; implicit-def: $vgpr8
.LBB14_143:                             ;   in Loop: Header=BB14_132 Depth=4
	v_mov_b32_e32 v8, v9
	s_branch .LBB14_131
.LBB14_144:
	s_or_b64 exec, exec, s[10:11]
	s_orn2_b64 s[2:3], s[6:7], exec
.LBB14_145:
	s_or_b64 exec, exec, s[30:31]
	v_cmp_eq_u32_e32 vcc, 0, v0
	s_and_b64 exec, exec, vcc
	s_cbranch_execz .LBB14_151
; %bb.146:
	v_lshl_add_u64 v[0:1], v[2:3], 2, s[28:29]
	v_mov_b32_e32 v3, 1
	buffer_wbl2 sc1
	s_waitcnt vmcnt(0)
	global_store_dword v[0:1], v3, off sc1
	s_and_b64 exec, exec, s[2:3]
	s_cbranch_execz .LBB14_151
; %bb.147:
	s_mov_b64 s[0:1], exec
	v_add_u32_e32 v0, s34, v2
	s_brev_b32 s2, -2
.LBB14_148:                             ; =>This Inner Loop Header: Depth=1
	s_ff1_i32_b64 s3, s[0:1]
	v_readlane_b32 s6, v0, s3
	s_lshl_b64 s[4:5], 1, s3
	s_min_i32 s2, s2, s6
	s_andn2_b64 s[0:1], s[0:1], s[4:5]
	s_cmp_lg_u64 s[0:1], 0
	s_cbranch_scc1 .LBB14_148
; %bb.149:
	v_mbcnt_lo_u32_b32 v0, exec_lo, 0
	v_mbcnt_hi_u32_b32 v0, exec_hi, v0
	v_cmp_eq_u32_e32 vcc, 0, v0
	s_and_saveexec_b64 s[0:1], vcc
	s_xor_b64 s[0:1], exec, s[0:1]
	s_cbranch_execz .LBB14_151
; %bb.150:
	v_mov_b32_e32 v0, 0
	v_mov_b32_e32 v1, s2
	global_atomic_smin v0, v1, s[26:27]
.LBB14_151:
	s_endpgm
	.section	.rodata,"a",@progbits
	.p2align	6, 0x0
	.amdhsa_kernel _ZN9rocsparseL15bsrilu0_generalILj128ELj64ELb1E21rocsparse_complex_numIfEEEv20rocsparse_direction_iPKiS5_PT2_S5_iPiS5_S8_21rocsparse_index_base_imNS_24const_host_device_scalarIfEENSA_IdEENSA_IS6_EEb
		.amdhsa_group_segment_fixed_size 0
		.amdhsa_private_segment_fixed_size 0
		.amdhsa_kernarg_size 116
		.amdhsa_user_sgpr_count 2
		.amdhsa_user_sgpr_dispatch_ptr 0
		.amdhsa_user_sgpr_queue_ptr 0
		.amdhsa_user_sgpr_kernarg_segment_ptr 1
		.amdhsa_user_sgpr_dispatch_id 0
		.amdhsa_user_sgpr_kernarg_preload_length 0
		.amdhsa_user_sgpr_kernarg_preload_offset 0
		.amdhsa_user_sgpr_private_segment_size 0
		.amdhsa_uses_dynamic_stack 0
		.amdhsa_enable_private_segment 0
		.amdhsa_system_sgpr_workgroup_id_x 1
		.amdhsa_system_sgpr_workgroup_id_y 0
		.amdhsa_system_sgpr_workgroup_id_z 0
		.amdhsa_system_sgpr_workgroup_info 0
		.amdhsa_system_vgpr_workitem_id 0
		.amdhsa_next_free_vgpr 46
		.amdhsa_next_free_sgpr 70
		.amdhsa_accum_offset 48
		.amdhsa_reserve_vcc 1
		.amdhsa_float_round_mode_32 0
		.amdhsa_float_round_mode_16_64 0
		.amdhsa_float_denorm_mode_32 3
		.amdhsa_float_denorm_mode_16_64 3
		.amdhsa_dx10_clamp 1
		.amdhsa_ieee_mode 1
		.amdhsa_fp16_overflow 0
		.amdhsa_tg_split 0
		.amdhsa_exception_fp_ieee_invalid_op 0
		.amdhsa_exception_fp_denorm_src 0
		.amdhsa_exception_fp_ieee_div_zero 0
		.amdhsa_exception_fp_ieee_overflow 0
		.amdhsa_exception_fp_ieee_underflow 0
		.amdhsa_exception_fp_ieee_inexact 0
		.amdhsa_exception_int_div_zero 0
	.end_amdhsa_kernel
	.section	.text._ZN9rocsparseL15bsrilu0_generalILj128ELj64ELb1E21rocsparse_complex_numIfEEEv20rocsparse_direction_iPKiS5_PT2_S5_iPiS5_S8_21rocsparse_index_base_imNS_24const_host_device_scalarIfEENSA_IdEENSA_IS6_EEb,"axG",@progbits,_ZN9rocsparseL15bsrilu0_generalILj128ELj64ELb1E21rocsparse_complex_numIfEEEv20rocsparse_direction_iPKiS5_PT2_S5_iPiS5_S8_21rocsparse_index_base_imNS_24const_host_device_scalarIfEENSA_IdEENSA_IS6_EEb,comdat
.Lfunc_end14:
	.size	_ZN9rocsparseL15bsrilu0_generalILj128ELj64ELb1E21rocsparse_complex_numIfEEEv20rocsparse_direction_iPKiS5_PT2_S5_iPiS5_S8_21rocsparse_index_base_imNS_24const_host_device_scalarIfEENSA_IdEENSA_IS6_EEb, .Lfunc_end14-_ZN9rocsparseL15bsrilu0_generalILj128ELj64ELb1E21rocsparse_complex_numIfEEEv20rocsparse_direction_iPKiS5_PT2_S5_iPiS5_S8_21rocsparse_index_base_imNS_24const_host_device_scalarIfEENSA_IdEENSA_IS6_EEb
                                        ; -- End function
	.set _ZN9rocsparseL15bsrilu0_generalILj128ELj64ELb1E21rocsparse_complex_numIfEEEv20rocsparse_direction_iPKiS5_PT2_S5_iPiS5_S8_21rocsparse_index_base_imNS_24const_host_device_scalarIfEENSA_IdEENSA_IS6_EEb.num_vgpr, 46
	.set _ZN9rocsparseL15bsrilu0_generalILj128ELj64ELb1E21rocsparse_complex_numIfEEEv20rocsparse_direction_iPKiS5_PT2_S5_iPiS5_S8_21rocsparse_index_base_imNS_24const_host_device_scalarIfEENSA_IdEENSA_IS6_EEb.num_agpr, 0
	.set _ZN9rocsparseL15bsrilu0_generalILj128ELj64ELb1E21rocsparse_complex_numIfEEEv20rocsparse_direction_iPKiS5_PT2_S5_iPiS5_S8_21rocsparse_index_base_imNS_24const_host_device_scalarIfEENSA_IdEENSA_IS6_EEb.numbered_sgpr, 70
	.set _ZN9rocsparseL15bsrilu0_generalILj128ELj64ELb1E21rocsparse_complex_numIfEEEv20rocsparse_direction_iPKiS5_PT2_S5_iPiS5_S8_21rocsparse_index_base_imNS_24const_host_device_scalarIfEENSA_IdEENSA_IS6_EEb.num_named_barrier, 0
	.set _ZN9rocsparseL15bsrilu0_generalILj128ELj64ELb1E21rocsparse_complex_numIfEEEv20rocsparse_direction_iPKiS5_PT2_S5_iPiS5_S8_21rocsparse_index_base_imNS_24const_host_device_scalarIfEENSA_IdEENSA_IS6_EEb.private_seg_size, 0
	.set _ZN9rocsparseL15bsrilu0_generalILj128ELj64ELb1E21rocsparse_complex_numIfEEEv20rocsparse_direction_iPKiS5_PT2_S5_iPiS5_S8_21rocsparse_index_base_imNS_24const_host_device_scalarIfEENSA_IdEENSA_IS6_EEb.uses_vcc, 1
	.set _ZN9rocsparseL15bsrilu0_generalILj128ELj64ELb1E21rocsparse_complex_numIfEEEv20rocsparse_direction_iPKiS5_PT2_S5_iPiS5_S8_21rocsparse_index_base_imNS_24const_host_device_scalarIfEENSA_IdEENSA_IS6_EEb.uses_flat_scratch, 0
	.set _ZN9rocsparseL15bsrilu0_generalILj128ELj64ELb1E21rocsparse_complex_numIfEEEv20rocsparse_direction_iPKiS5_PT2_S5_iPiS5_S8_21rocsparse_index_base_imNS_24const_host_device_scalarIfEENSA_IdEENSA_IS6_EEb.has_dyn_sized_stack, 0
	.set _ZN9rocsparseL15bsrilu0_generalILj128ELj64ELb1E21rocsparse_complex_numIfEEEv20rocsparse_direction_iPKiS5_PT2_S5_iPiS5_S8_21rocsparse_index_base_imNS_24const_host_device_scalarIfEENSA_IdEENSA_IS6_EEb.has_recursion, 0
	.set _ZN9rocsparseL15bsrilu0_generalILj128ELj64ELb1E21rocsparse_complex_numIfEEEv20rocsparse_direction_iPKiS5_PT2_S5_iPiS5_S8_21rocsparse_index_base_imNS_24const_host_device_scalarIfEENSA_IdEENSA_IS6_EEb.has_indirect_call, 0
	.section	.AMDGPU.csdata,"",@progbits
; Kernel info:
; codeLenInByte = 4484
; TotalNumSgprs: 76
; NumVgprs: 46
; NumAgprs: 0
; TotalNumVgprs: 46
; ScratchSize: 0
; MemoryBound: 0
; FloatMode: 240
; IeeeMode: 1
; LDSByteSize: 0 bytes/workgroup (compile time only)
; SGPRBlocks: 9
; VGPRBlocks: 5
; NumSGPRsForWavesPerEU: 76
; NumVGPRsForWavesPerEU: 46
; AccumOffset: 48
; Occupancy: 8
; WaveLimiterHint : 1
; COMPUTE_PGM_RSRC2:SCRATCH_EN: 0
; COMPUTE_PGM_RSRC2:USER_SGPR: 2
; COMPUTE_PGM_RSRC2:TRAP_HANDLER: 0
; COMPUTE_PGM_RSRC2:TGID_X_EN: 1
; COMPUTE_PGM_RSRC2:TGID_Y_EN: 0
; COMPUTE_PGM_RSRC2:TGID_Z_EN: 0
; COMPUTE_PGM_RSRC2:TIDIG_COMP_CNT: 0
; COMPUTE_PGM_RSRC3_GFX90A:ACCUM_OFFSET: 11
; COMPUTE_PGM_RSRC3_GFX90A:TG_SPLIT: 0
	.section	.text._ZN9rocsparseL15bsrilu0_generalILj128ELj32ELb0E21rocsparse_complex_numIfEEEv20rocsparse_direction_iPKiS5_PT2_S5_iPiS5_S8_21rocsparse_index_base_imNS_24const_host_device_scalarIfEENSA_IdEENSA_IS6_EEb,"axG",@progbits,_ZN9rocsparseL15bsrilu0_generalILj128ELj32ELb0E21rocsparse_complex_numIfEEEv20rocsparse_direction_iPKiS5_PT2_S5_iPiS5_S8_21rocsparse_index_base_imNS_24const_host_device_scalarIfEENSA_IdEENSA_IS6_EEb,comdat
	.globl	_ZN9rocsparseL15bsrilu0_generalILj128ELj32ELb0E21rocsparse_complex_numIfEEEv20rocsparse_direction_iPKiS5_PT2_S5_iPiS5_S8_21rocsparse_index_base_imNS_24const_host_device_scalarIfEENSA_IdEENSA_IS6_EEb ; -- Begin function _ZN9rocsparseL15bsrilu0_generalILj128ELj32ELb0E21rocsparse_complex_numIfEEEv20rocsparse_direction_iPKiS5_PT2_S5_iPiS5_S8_21rocsparse_index_base_imNS_24const_host_device_scalarIfEENSA_IdEENSA_IS6_EEb
	.p2align	8
	.type	_ZN9rocsparseL15bsrilu0_generalILj128ELj32ELb0E21rocsparse_complex_numIfEEEv20rocsparse_direction_iPKiS5_PT2_S5_iPiS5_S8_21rocsparse_index_base_imNS_24const_host_device_scalarIfEENSA_IdEENSA_IS6_EEb,@function
_ZN9rocsparseL15bsrilu0_generalILj128ELj32ELb0E21rocsparse_complex_numIfEEEv20rocsparse_direction_iPKiS5_PT2_S5_iPiS5_S8_21rocsparse_index_base_imNS_24const_host_device_scalarIfEENSA_IdEENSA_IS6_EEb: ; @_ZN9rocsparseL15bsrilu0_generalILj128ELj32ELb0E21rocsparse_complex_numIfEEEv20rocsparse_direction_iPKiS5_PT2_S5_iPiS5_S8_21rocsparse_index_base_imNS_24const_host_device_scalarIfEENSA_IdEENSA_IS6_EEb
; %bb.0:
	s_load_dword s3, s[0:1], 0x70
	s_load_dwordx2 s[34:35], s[0:1], 0x48
	s_load_dwordx8 s[24:31], s[0:1], 0x50
	s_waitcnt lgkmcnt(0)
	s_bitcmp1_b32 s3, 0
	s_cselect_b64 s[4:5], -1, 0
	s_cmp_eq_u32 s35, 0
	s_cselect_b64 s[12:13], -1, 0
	s_cmp_lg_u32 s35, 0
	s_cselect_b64 s[6:7], -1, 0
	s_or_b64 s[14:15], s[12:13], s[4:5]
	s_xor_b64 s[8:9], s[14:15], -1
	s_and_b64 s[10:11], s[12:13], exec
	s_cselect_b32 s11, 0, s29
	s_cselect_b32 s10, 0, s28
	s_and_b64 vcc, exec, s[14:15]
	s_cbranch_vccnz .LBB15_2
; %bb.1:
	s_load_dword s3, s[26:27], 0x0
	s_mov_b64 s[10:11], s[28:29]
	s_waitcnt lgkmcnt(0)
	v_mov_b32_e32 v25, s3
	s_andn2_b64 vcc, exec, s[8:9]
	v_mov_b64_e32 v[6:7], s[10:11]
	s_cbranch_vccz .LBB15_3
	s_branch .LBB15_4
.LBB15_2:
	v_mov_b32_e32 v1, s26
	v_cndmask_b32_e64 v25, v1, 0, s[12:13]
	s_andn2_b64 vcc, exec, s[8:9]
	v_mov_b64_e32 v[6:7], s[10:11]
	s_cbranch_vccnz .LBB15_4
.LBB15_3:
	v_mov_b64_e32 v[2:3], s[28:29]
	flat_load_dwordx2 v[6:7], v[2:3]
.LBB15_4:
	s_mov_b32 s35, 0
	v_cndmask_b32_e64 v1, 0, 1, s[6:7]
	v_cmp_ne_u32_e64 s[14:15], 1, v1
	s_andn2_b64 vcc, exec, s[6:7]
	s_mov_b32 s60, s35
	s_cbranch_vccnz .LBB15_10
; %bb.5:
	s_xor_b64 s[6:7], s[4:5], -1
	v_cndmask_b32_e64 v1, 0, 1, s[6:7]
	v_cmp_ne_u32_e64 s[4:5], 1, v1
	s_andn2_b64 vcc, exec, s[6:7]
	s_mov_b32 s35, s30
	s_cbranch_vccnz .LBB15_7
; %bb.6:
	s_load_dword s35, s[30:31], 0x0
.LBB15_7:
	s_and_b64 vcc, exec, s[4:5]
	s_cbranch_vccnz .LBB15_9
; %bb.8:
	s_load_dword s31, s[30:31], 0x4
.LBB15_9:
	s_waitcnt lgkmcnt(0)
	s_mov_b32 s60, s31
.LBB15_10:
	s_load_dwordx2 s[36:37], s[0:1], 0x0
	s_lshl_b32 s2, s2, 2
	v_lshrrev_b32_e32 v1, 5, v0
	s_and_b32 s2, s2, 0x7fffffc
	v_or_b32_e32 v1, s2, v1
	s_waitcnt lgkmcnt(0)
	v_cmp_gt_i32_e32 vcc, s37, v1
	s_and_saveexec_b64 s[2:3], vcc
	s_cbranch_execz .LBB15_149
; %bb.11:
	s_load_dwordx4 s[28:31], s[0:1], 0x30
	s_load_dwordx2 s[26:27], s[0:1], 0x40
	v_lshlrev_b32_e32 v1, 2, v1
	s_load_dwordx8 s[16:23], s[0:1], 0x8
	v_and_b32_e32 v0, 31, v0
	s_waitcnt lgkmcnt(0)
	global_load_dword v2, v1, s[30:31]
	s_mov_b64 s[2:3], -1
	s_waitcnt vmcnt(0)
	v_ashrrev_i32_e32 v3, 31, v2
	v_lshl_add_u64 v[4:5], v[2:3], 2, s[22:23]
	global_load_dword v4, v[4:5], off
	s_waitcnt vmcnt(0)
	v_cmp_ne_u32_e32 vcc, -1, v4
	s_and_saveexec_b64 s[30:31], vcc
	s_cbranch_execz .LBB15_143
; %bb.12:
	v_lshl_add_u64 v[8:9], v[2:3], 2, s[16:17]
	global_load_dwordx2 v[8:9], v[8:9], off
	s_load_dword s33, s[0:1], 0x28
	s_mov_b64 s[6:7], 0
	s_waitcnt vmcnt(0)
	v_subrev_u32_e32 v8, s34, v8
	v_subrev_u32_e32 v1, s34, v9
	v_cmp_lt_i32_e32 vcc, v8, v4
	s_and_saveexec_b64 s[38:39], vcc
	s_cbranch_execz .LBB15_78
; %bb.13:
	s_waitcnt lgkmcnt(0)
	s_cmp_gt_i32 s33, 0
	s_cselect_b64 s[0:1], -1, 0
	v_add_u32_e32 v10, v8, v0
	v_mad_u64_u32 v[14:15], s[8:9], s33, v8, v[0:1]
	v_cndmask_b32_e64 v9, 0, 1, s[0:1]
	s_cmp_lg_u32 s36, 0
	v_ashrrev_i32_e32 v11, 31, v10
	v_mul_lo_u32 v5, s33, v14
	v_cmp_ne_u32_e64 s[8:9], 1, v9
	v_mbcnt_lo_u32_b32 v9, -1, 0
	s_cselect_b64 s[40:41], -1, 0
	v_cmp_gt_i32_e64 s[2:3], s33, v0
	v_cmp_le_i32_e64 s[4:5], s33, v0
	v_cmp_lt_i32_e64 s[6:7], v10, v1
	s_add_i32 s37, s37, 1
	v_lshl_add_u64 v[12:13], v[10:11], 2, s[18:19]
	s_mul_i32 s61, s33, s33
	s_add_i32 s62, s33, 1
	v_add_u32_e32 v11, 1, v5
	s_lshl_b32 s63, s33, 5
	s_add_i32 s64, s33, -1
	s_mov_b64 s[48:49], 0
	s_mov_b64 s[42:43], 0
	v_mbcnt_hi_u32_b32 v36, -1, v9
                                        ; implicit-def: $sgpr44_sgpr45
                                        ; implicit-def: $sgpr46_sgpr47
	s_branch .LBB15_16
.LBB15_14:                              ;   in Loop: Header=BB15_16 Depth=1
	s_or_b64 exec, exec, s[0:1]
	s_andn2_b64 s[0:1], s[46:47], exec
	s_and_b64 s[12:13], s[48:49], exec
	s_or_b64 s[46:47], s[0:1], s[12:13]
.LBB15_15:                              ;   in Loop: Header=BB15_16 Depth=1
	s_or_b64 exec, exec, s[50:51]
	v_add_u32_e32 v8, 1, v8
	v_cmp_ge_i32_e32 vcc, v8, v4
	s_xor_b64 s[0:1], s[10:11], -1
	s_or_b64 s[0:1], s[0:1], vcc
	s_and_b64 s[0:1], exec, s[0:1]
	s_or_b64 s[42:43], s[0:1], s[42:43]
	s_andn2_b64 s[0:1], s[44:45], exec
	s_and_b64 s[10:11], s[46:47], exec
	v_add_u32_e32 v11, s61, v11
	v_add_u32_e32 v5, s61, v5
	s_or_b64 s[44:45], s[0:1], s[10:11]
	s_mov_b64 s[48:49], s[46:47]
	s_andn2_b64 exec, exec, s[42:43]
	s_cbranch_execz .LBB15_77
.LBB15_16:                              ; =>This Loop Header: Depth=1
                                        ;     Child Loop BB15_19 Depth 2
                                        ;     Child Loop BB15_24 Depth 2
                                        ;       Child Loop BB15_29 Depth 3
                                        ;         Child Loop BB15_38 Depth 4
                                        ;     Child Loop BB15_51 Depth 2
                                        ;       Child Loop BB15_56 Depth 3
                                        ;       Child Loop BB15_63 Depth 3
                                        ;         Child Loop BB15_65 Depth 4
                                        ;           Child Loop BB15_67 Depth 5
	v_ashrrev_i32_e32 v9, 31, v8
	v_lshl_add_u64 v[14:15], v[8:9], 2, s[18:19]
	global_load_dword v9, v[14:15], off
	s_or_b64 s[46:47], s[46:47], exec
	s_waitcnt vmcnt(0)
	v_subrev_u32_e32 v14, s34, v9
	v_ashrrev_i32_e32 v15, 31, v14
	s_waitcnt lgkmcnt(0)
	v_lshl_add_u64 v[16:17], v[14:15], 2, s[22:23]
	global_load_dword v17, v[16:17], off
	s_waitcnt vmcnt(0)
	v_cmp_ne_u32_e64 s[10:11], -1, v17
	s_and_saveexec_b64 s[50:51], s[10:11]
	s_cbranch_execz .LBB15_15
; %bb.17:                               ;   in Loop: Header=BB15_16 Depth=1
	v_lshlrev_b64 v[14:15], 2, v[14:15]
	v_lshl_add_u64 v[18:19], s[16:17], 0, v[14:15]
	v_lshl_add_u64 v[14:15], s[28:29], 0, v[14:15]
	global_load_dword v37, v[18:19], off offset:4
	global_load_dword v9, v[14:15], off sc1
	s_waitcnt vmcnt(0)
	v_cmp_eq_u32_e32 vcc, 0, v9
	s_and_saveexec_b64 s[0:1], vcc
	s_cbranch_execz .LBB15_20
; %bb.18:                               ;   in Loop: Header=BB15_16 Depth=1
	s_mov_b64 s[12:13], 0
.LBB15_19:                              ;   Parent Loop BB15_16 Depth=1
                                        ; =>  This Inner Loop Header: Depth=2
	global_load_dword v9, v[14:15], off sc1
	s_waitcnt vmcnt(0)
	v_cmp_ne_u32_e32 vcc, 0, v9
	s_or_b64 s[12:13], vcc, s[12:13]
	s_andn2_b64 exec, exec, s[12:13]
	s_cbranch_execnz .LBB15_19
.LBB15_20:                              ;   in Loop: Header=BB15_16 Depth=1
	s_or_b64 exec, exec, s[0:1]
	s_and_b64 vcc, exec, s[8:9]
	v_mul_lo_u32 v9, v8, s33
	buffer_inv sc1
	s_cbranch_vccnz .LBB15_47
; %bb.21:                               ;   in Loop: Header=BB15_16 Depth=1
	v_mad_u64_u32 v[14:15], s[0:1], s61, v17, 1
	v_mul_lo_u32 v38, v17, s33
	v_mov_b32_e32 v16, 0
	s_mov_b64 s[52:53], 0
	s_mov_b32 s65, s64
	v_mov_b32_e32 v15, v11
	s_branch .LBB15_24
.LBB15_22:                              ;   in Loop: Header=BB15_24 Depth=2
	s_or_b64 exec, exec, s[56:57]
	v_mov_b32_e32 v16, v39
.LBB15_23:                              ;   in Loop: Header=BB15_24 Depth=2
	s_or_b64 exec, exec, s[54:55]
	s_add_i32 s65, s65, -1
	v_cmp_eq_u32_e32 vcc, s33, v16
	v_add_u32_e32 v14, s62, v14
	s_or_b64 s[52:53], vcc, s[52:53]
	v_add_u32_e32 v15, 1, v15
	s_andn2_b64 exec, exec, s[52:53]
	s_cbranch_execz .LBB15_46
.LBB15_24:                              ;   Parent Loop BB15_16 Depth=1
                                        ; =>  This Loop Header: Depth=2
                                        ;       Child Loop BB15_29 Depth 3
                                        ;         Child Loop BB15_38 Depth 4
	v_add_u32_e32 v39, 1, v16
	s_and_saveexec_b64 s[0:1], s[4:5]
	s_xor_b64 s[0:1], exec, s[0:1]
; %bb.25:                               ;   in Loop: Header=BB15_24 Depth=2
	v_add_u32_e32 v16, 1, v16
                                        ; implicit-def: $vgpr39
; %bb.26:                               ;   in Loop: Header=BB15_24 Depth=2
	s_andn2_saveexec_b64 s[54:55], s[0:1]
	s_cbranch_execz .LBB15_23
; %bb.27:                               ;   in Loop: Header=BB15_24 Depth=2
	v_add_u32_e32 v18, v16, v38
	v_mad_u64_u32 v[18:19], s[0:1], v18, s33, v[16:17]
	v_ashrrev_i32_e32 v19, 31, v18
	v_lshl_add_u64 v[18:19], v[18:19], 3, s[20:21]
	global_load_dwordx2 v[18:19], v[18:19], off
	v_add_u32_e32 v20, v16, v9
	v_cmp_gt_i32_e64 s[12:13], s33, v39
	s_mov_b64 s[56:57], 0
	v_mov_b32_e32 v40, v15
	v_mul_lo_u32 v41, v20, s33
	s_waitcnt vmcnt(0)
	v_mul_f32_e32 v22, v19, v19
	v_fmac_f32_e32 v22, v18, v18
	v_div_scale_f32 v23, s[0:1], v22, v22, 1.0
	v_rcp_f32_e32 v24, v23
	v_div_scale_f32 v26, vcc, 1.0, v22, 1.0
	v_mov_b32_e32 v20, v18
	v_fma_f32 v27, -v23, v24, 1.0
	v_fmac_f32_e32 v24, v27, v24
	v_mul_f32_e32 v27, v26, v24
	v_fma_f32 v28, -v23, v27, v26
	v_fmac_f32_e32 v27, v28, v24
	v_fma_f32 v23, -v23, v27, v26
	v_div_fmas_f32 v23, v23, v24, v27
	v_div_fixup_f32 v22, v23, v22, 1.0
	v_mov_b32_e32 v21, v18
	v_mov_b32_e32 v18, v19
	;; [unrolled: 1-line block ×4, first 2 shown]
	s_branch .LBB15_29
.LBB15_28:                              ;   in Loop: Header=BB15_29 Depth=3
	s_or_b64 exec, exec, s[58:59]
	v_add_u32_e32 v24, 32, v24
	v_cmp_le_i32_e32 vcc, s33, v24
	s_or_b64 s[56:57], vcc, s[56:57]
	v_add_u32_e32 v40, s63, v40
	s_andn2_b64 exec, exec, s[56:57]
	s_cbranch_execz .LBB15_22
.LBB15_29:                              ;   Parent Loop BB15_16 Depth=1
                                        ;     Parent Loop BB15_24 Depth=2
                                        ; =>    This Loop Header: Depth=3
                                        ;         Child Loop BB15_38 Depth 4
	s_and_b64 vcc, exec, s[40:41]
	v_add_u32_e32 v28, v24, v41
	s_cbranch_vccz .LBB15_44
; %bb.30:                               ;   in Loop: Header=BB15_29 Depth=3
	v_add_u32_e32 v26, v24, v41
	v_add_u32_e32 v29, v24, v9
	s_cbranch_execnz .LBB15_32
.LBB15_31:                              ;   in Loop: Header=BB15_29 Depth=3
	v_mad_u64_u32 v[26:27], s[0:1], v29, s33, v[16:17]
.LBB15_32:                              ;   in Loop: Header=BB15_29 Depth=3
	v_ashrrev_i32_e32 v27, 31, v26
	v_lshl_add_u64 v[26:27], v[26:27], 3, s[20:21]
	global_load_dwordx2 v[26:27], v[26:27], off
	s_and_b64 vcc, exec, s[40:41]
	s_cbranch_vccz .LBB15_45
; %bb.33:                               ;   in Loop: Header=BB15_29 Depth=3
	s_cbranch_execnz .LBB15_35
.LBB15_34:                              ;   in Loop: Header=BB15_29 Depth=3
	v_mad_u64_u32 v[28:29], s[0:1], v29, s33, v[16:17]
.LBB15_35:                              ;   in Loop: Header=BB15_29 Depth=3
	s_waitcnt vmcnt(0)
	v_xor_b32_e32 v31, 0x80000000, v26
	v_mov_b32_e32 v30, v27
	v_pk_mul_f32 v[30:31], v[18:19], v[30:31]
	v_ashrrev_i32_e32 v29, 31, v28
	v_pk_fma_f32 v[26:27], v[26:27], v[20:21], v[30:31]
	v_lshl_add_u64 v[28:29], v[28:29], 3, s[20:21]
	v_pk_mul_f32 v[26:27], v[22:23], v[26:27]
	global_store_dwordx2 v[28:29], v[26:27], off
	s_and_saveexec_b64 s[58:59], s[12:13]
	s_cbranch_execz .LBB15_28
; %bb.36:                               ;   in Loop: Header=BB15_29 Depth=3
	v_pk_add_f32 v[28:29], v[26:27], 0 neg_lo:[1,1] neg_hi:[1,1]
	s_mov_b32 s66, s65
	v_pk_mov_b32 v[28:29], v[26:27], v[28:29] op_sel:[1,0]
	v_mov_b32_e32 v42, v40
	v_mov_b32_e32 v43, v14
	;; [unrolled: 1-line block ×3, first 2 shown]
	s_branch .LBB15_38
.LBB15_37:                              ;   in Loop: Header=BB15_38 Depth=4
	s_waitcnt vmcnt(0)
	v_pk_fma_f32 v[34:35], v[26:27], v[30:31], v[34:35] op_sel_hi:[1,0,1] neg_lo:[1,0,0] neg_hi:[1,0,0]
	v_ashrrev_i32_e32 v33, 31, v32
	s_add_i32 s66, s66, -1
	v_pk_fma_f32 v[30:31], v[28:29], v[30:31], v[34:35] op_sel:[0,1,0]
	v_lshl_add_u64 v[32:33], v[32:33], 3, s[20:21]
	v_add_u32_e32 v44, 1, v44
	v_add_u32_e32 v43, 1, v43
	s_cmp_eq_u32 s66, 0
	v_add_u32_e32 v42, 1, v42
	global_store_dwordx2 v[32:33], v[30:31], off
	s_cbranch_scc1 .LBB15_28
.LBB15_38:                              ;   Parent Loop BB15_16 Depth=1
                                        ;     Parent Loop BB15_24 Depth=2
                                        ;       Parent Loop BB15_29 Depth=3
                                        ; =>      This Inner Loop Header: Depth=4
	v_cndmask_b32_e64 v30, 0, 1, s[40:41]
	v_cmp_ne_u32_e64 s[0:1], 1, v30
	s_andn2_b64 vcc, exec, s[40:41]
	v_mov_b32_e32 v30, v43
	s_cbranch_vccnz .LBB15_40
; %bb.39:                               ;   in Loop: Header=BB15_38 Depth=4
	v_add_u32_e32 v30, v44, v38
	v_mad_u64_u32 v[30:31], s[68:69], v30, s33, v[16:17]
.LBB15_40:                              ;   in Loop: Header=BB15_38 Depth=4
	v_ashrrev_i32_e32 v31, 31, v30
	v_lshl_add_u64 v[30:31], v[30:31], 3, s[20:21]
	global_load_dwordx2 v[30:31], v[30:31], off
	s_and_b64 vcc, exec, s[0:1]
	v_add_u32_e32 v45, v44, v9
	v_mov_b32_e32 v32, v42
	s_cbranch_vccnz .LBB15_42
; %bb.41:                               ;   in Loop: Header=BB15_38 Depth=4
	v_mad_u64_u32 v[32:33], s[68:69], v45, s33, v[24:25]
.LBB15_42:                              ;   in Loop: Header=BB15_38 Depth=4
	v_ashrrev_i32_e32 v33, 31, v32
	v_lshl_add_u64 v[32:33], v[32:33], 3, s[20:21]
	global_load_dwordx2 v[34:35], v[32:33], off
	s_and_b64 vcc, exec, s[0:1]
	v_mov_b32_e32 v32, v42
	s_cbranch_vccnz .LBB15_37
; %bb.43:                               ;   in Loop: Header=BB15_38 Depth=4
	v_mad_u64_u32 v[32:33], s[0:1], v45, s33, v[24:25]
	s_branch .LBB15_37
.LBB15_44:                              ;   in Loop: Header=BB15_29 Depth=3
                                        ; implicit-def: $vgpr26
	v_add_u32_e32 v29, v24, v9
	s_branch .LBB15_31
.LBB15_45:                              ;   in Loop: Header=BB15_29 Depth=3
                                        ; implicit-def: $vgpr28
	s_branch .LBB15_34
.LBB15_46:                              ;   in Loop: Header=BB15_16 Depth=1
	s_or_b64 exec, exec, s[52:53]
.LBB15_47:                              ;   in Loop: Header=BB15_16 Depth=1
	v_subrev_u32_e32 v24, s34, v37
	v_add_u32_e32 v14, 1, v17
	v_cmp_lt_i32_e32 vcc, v14, v24
	s_and_saveexec_b64 s[0:1], vcc
	s_cbranch_execz .LBB15_14
; %bb.48:                               ;   in Loop: Header=BB15_16 Depth=1
	v_mul_lo_u32 v26, s61, v14
	s_mov_b64 s[12:13], 0
	s_branch .LBB15_51
.LBB15_49:                              ;   in Loop: Header=BB15_51 Depth=2
	s_or_b64 exec, exec, s[52:53]
.LBB15_50:                              ;   in Loop: Header=BB15_51 Depth=2
	v_add_u32_e32 v14, 1, v14
	v_cmp_ge_i32_e32 vcc, v14, v24
	s_or_b64 s[12:13], vcc, s[12:13]
	v_add_u32_e32 v26, s61, v26
	s_andn2_b64 exec, exec, s[12:13]
	s_cbranch_execz .LBB15_14
.LBB15_51:                              ;   Parent Loop BB15_16 Depth=1
                                        ; =>  This Loop Header: Depth=2
                                        ;       Child Loop BB15_56 Depth 3
                                        ;       Child Loop BB15_63 Depth 3
                                        ;         Child Loop BB15_65 Depth 4
                                        ;           Child Loop BB15_67 Depth 5
	v_ashrrev_i32_e32 v15, 31, v14
	s_waitcnt lgkmcnt(0)
	v_lshl_add_u64 v[16:17], v[14:15], 2, s[18:19]
	global_load_dword v15, v[16:17], off
	v_mov_b32_e32 v17, s37
	s_and_saveexec_b64 s[52:53], s[6:7]
	s_cbranch_execz .LBB15_53
; %bb.52:                               ;   in Loop: Header=BB15_51 Depth=2
	global_load_dword v16, v[12:13], off
	s_waitcnt vmcnt(0)
	v_subrev_u32_e32 v17, s34, v16
.LBB15_53:                              ;   in Loop: Header=BB15_51 Depth=2
	s_or_b64 exec, exec, s[52:53]
	s_waitcnt vmcnt(0)
	v_subrev_u32_e32 v15, s34, v15
	v_cmp_lt_i32_e32 vcc, v17, v15
	v_mov_b32_e32 v18, v10
	s_and_saveexec_b64 s[52:53], vcc
	s_cbranch_execz .LBB15_59
; %bb.54:                               ;   in Loop: Header=BB15_51 Depth=2
	s_mov_b64 s[54:55], 0
	v_mov_b32_e32 v16, v10
	s_branch .LBB15_56
.LBB15_55:                              ;   in Loop: Header=BB15_56 Depth=3
	s_or_b64 exec, exec, s[56:57]
	v_cmp_ge_i32_e32 vcc, v17, v15
	s_or_b64 s[54:55], vcc, s[54:55]
	v_mov_b32_e32 v16, v18
	s_andn2_b64 exec, exec, s[54:55]
	s_cbranch_execz .LBB15_58
.LBB15_56:                              ;   Parent Loop BB15_16 Depth=1
                                        ;     Parent Loop BB15_51 Depth=2
                                        ; =>    This Inner Loop Header: Depth=3
	v_add_u32_e32 v18, 32, v16
	v_cmp_lt_i32_e32 vcc, v18, v1
	v_mov_b32_e32 v17, s37
	s_and_saveexec_b64 s[56:57], vcc
	s_cbranch_execz .LBB15_55
; %bb.57:                               ;   in Loop: Header=BB15_56 Depth=3
	v_ashrrev_i32_e32 v17, 31, v16
	v_lshl_add_u64 v[16:17], v[16:17], 2, s[18:19]
	global_load_dword v16, v[16:17], off offset:128
	s_waitcnt vmcnt(0)
	v_subrev_u32_e32 v17, s34, v16
	s_branch .LBB15_55
.LBB15_58:                              ;   in Loop: Header=BB15_51 Depth=2
	s_or_b64 exec, exec, s[54:55]
.LBB15_59:                              ;   in Loop: Header=BB15_51 Depth=2
	s_or_b64 exec, exec, s[52:53]
	v_cmp_eq_u32_e32 vcc, v17, v15
	s_cbranch_vccz .LBB15_50
; %bb.60:                               ;   in Loop: Header=BB15_51 Depth=2
	s_ff1_i32_b64 s52, vcc
	v_and_or_b32 v15, v36, 64, s52
	v_lshlrev_b32_e32 v15, 2, v15
	ds_bpermute_b32 v16, v15, v18
	s_and_saveexec_b64 s[52:53], s[2:3]
	s_cbranch_execz .LBB15_49
; %bb.61:                               ;   in Loop: Header=BB15_51 Depth=2
	v_mul_lo_u32 v15, v14, s33
	s_waitcnt lgkmcnt(0)
	v_mul_lo_u32 v17, v16, s33
	s_mov_b64 s[54:55], 0
	v_mov_b32_e32 v27, v5
	v_mov_b32_e32 v16, v0
	s_branch .LBB15_63
.LBB15_62:                              ;   in Loop: Header=BB15_63 Depth=3
	v_add_u32_e32 v16, 32, v16
	v_cmp_le_i32_e32 vcc, s33, v16
	s_or_b64 s[54:55], vcc, s[54:55]
	v_add_u32_e32 v27, s63, v27
	s_andn2_b64 exec, exec, s[54:55]
	s_cbranch_execz .LBB15_49
.LBB15_63:                              ;   Parent Loop BB15_16 Depth=1
                                        ;     Parent Loop BB15_51 Depth=2
                                        ; =>    This Loop Header: Depth=3
                                        ;         Child Loop BB15_65 Depth 4
                                        ;           Child Loop BB15_67 Depth 5
	v_add_u32_e32 v18, v16, v17
	v_mul_lo_u32 v28, v18, s33
	s_mov_b32 s58, 0
	v_mov_b32_e32 v29, v26
	s_branch .LBB15_65
.LBB15_64:                              ;   in Loop: Header=BB15_65 Depth=4
	v_ashrrev_i32_e32 v21, 31, v20
	v_lshl_add_u64 v[20:21], v[20:21], 3, s[20:21]
	global_load_dwordx2 v[22:23], v[20:21], off
	s_add_i32 s58, s58, 1
	s_cmp_eq_u32 s58, s33
	v_add_u32_e32 v29, 1, v29
	s_waitcnt vmcnt(0)
	v_pk_add_f32 v[18:19], v[22:23], v[18:19] neg_lo:[0,1] neg_hi:[0,1]
	global_store_dwordx2 v[20:21], v[18:19], off
	s_cbranch_scc1 .LBB15_62
.LBB15_65:                              ;   Parent Loop BB15_16 Depth=1
                                        ;     Parent Loop BB15_51 Depth=2
                                        ;       Parent Loop BB15_63 Depth=3
                                        ; =>      This Loop Header: Depth=4
                                        ;           Child Loop BB15_67 Depth 5
	v_add_u32_e32 v18, s58, v15
	v_mul_lo_u32 v30, v18, s33
	v_mov_b32_e32 v18, 0
	v_mov_b32_e32 v31, v29
	s_mov_b32 s59, 0
	v_mov_b32_e32 v19, v18
	s_branch .LBB15_67
.LBB15_66:                              ;   in Loop: Header=BB15_67 Depth=5
	v_ashrrev_i32_e32 v23, 31, v22
	v_lshl_add_u64 v[22:23], v[22:23], 3, s[20:21]
	global_load_dwordx2 v[22:23], v[22:23], off
	s_waitcnt vmcnt(1)
	v_xor_b32_e32 v32, 0x80000000, v21
	v_mov_b32_e32 v33, v20
	s_add_i32 s59, s59, 1
	s_cmp_eq_u32 s33, s59
	v_add_u32_e32 v31, s33, v31
	s_waitcnt vmcnt(0)
	v_pk_fma_f32 v[18:19], v[20:21], v[22:23], v[18:19] op_sel_hi:[1,0,1]
	s_nop 0
	v_pk_fma_f32 v[18:19], v[32:33], v[22:23], v[18:19] op_sel:[0,1,0]
	s_cbranch_scc1 .LBB15_73
.LBB15_67:                              ;   Parent Loop BB15_16 Depth=1
                                        ;     Parent Loop BB15_51 Depth=2
                                        ;       Parent Loop BB15_63 Depth=3
                                        ;         Parent Loop BB15_65 Depth=4
                                        ; =>        This Inner Loop Header: Depth=5
	s_and_b64 vcc, exec, s[40:41]
	s_cbranch_vccz .LBB15_72
; %bb.68:                               ;   in Loop: Header=BB15_67 Depth=5
	v_add_u32_e32 v20, s59, v9
	v_mad_u64_u32 v[20:21], s[56:57], v20, s33, v[16:17]
	s_cbranch_execnz .LBB15_70
.LBB15_69:                              ;   in Loop: Header=BB15_67 Depth=5
	v_add_u32_e32 v20, s59, v27
.LBB15_70:                              ;   in Loop: Header=BB15_67 Depth=5
	v_ashrrev_i32_e32 v21, 31, v20
	v_lshl_add_u64 v[20:21], v[20:21], 3, s[20:21]
	global_load_dwordx2 v[20:21], v[20:21], off
	s_andn2_b64 vcc, exec, s[40:41]
	v_mov_b32_e32 v22, v31
	s_cbranch_vccnz .LBB15_66
; %bb.71:                               ;   in Loop: Header=BB15_67 Depth=5
	v_add_u32_e32 v22, s59, v30
	s_branch .LBB15_66
.LBB15_72:                              ;   in Loop: Header=BB15_67 Depth=5
                                        ; implicit-def: $vgpr20
	s_branch .LBB15_69
.LBB15_73:                              ;   in Loop: Header=BB15_65 Depth=4
	s_and_b64 vcc, exec, s[40:41]
	s_cbranch_vccz .LBB15_75
; %bb.74:                               ;   in Loop: Header=BB15_65 Depth=4
	v_add_u32_e32 v20, s58, v17
	v_mad_u64_u32 v[20:21], s[56:57], v20, s33, v[16:17]
	s_cbranch_execnz .LBB15_64
	s_branch .LBB15_76
.LBB15_75:                              ;   in Loop: Header=BB15_65 Depth=4
                                        ; implicit-def: $vgpr20
.LBB15_76:                              ;   in Loop: Header=BB15_65 Depth=4
	v_add_u32_e32 v20, s58, v28
	s_branch .LBB15_64
.LBB15_77:
	s_or_b64 exec, exec, s[42:43]
	s_and_b64 s[6:7], s[44:45], exec
.LBB15_78:
	s_or_b64 exec, exec, s[38:39]
	v_ashrrev_i32_e32 v5, 31, v4
	v_lshl_add_u64 v[8:9], v[4:5], 2, s[18:19]
	global_load_dword v5, v[8:9], off
	s_waitcnt lgkmcnt(0)
	s_cmp_gt_i32 s33, 0
	s_cselect_b64 s[8:9], -1, 0
	s_waitcnt vmcnt(0)
	v_subrev_u32_e32 v5, s34, v5
	v_cmp_eq_u32_e32 vcc, v5, v2
	s_and_b64 s[0:1], s[8:9], vcc
	s_and_saveexec_b64 s[10:11], s[0:1]
	s_cbranch_execz .LBB15_118
; %bb.79:
	s_cmp_eq_u64 s[24:25], 8
	v_cvt_f64_f32_e32 v[8:9], v25
	s_cselect_b64 vcc, -1, 0
	s_mul_i32 s0, s33, s33
	v_cndmask_b32_e32 v7, v9, v7, vcc
	v_cndmask_b32_e32 v6, v8, v6, vcc
	v_mul_lo_u32 v5, v4, s33
	v_mad_u64_u32 v[8:9], s[0:1], v4, s0, 1
	s_cmp_lg_u32 s36, 0
	v_add_u32_e32 v9, v5, v0
	s_cselect_b64 s[12:13], -1, 0
	s_add_i32 s37, s33, 1
	v_mul_lo_u32 v9, s33, v9
	v_cmp_eq_u32_e64 s[2:3], 0, v0
	v_add_u32_e32 v9, s37, v9
	s_lshl_b32 s46, s33, 5
	s_add_i32 s47, s33, -1
	v_mov_b32_e32 v10, 0
	s_mov_b64 s[16:17], 0
	s_mov_b32 s48, 0xf800000
	v_mov_b32_e32 v11, 0x260
	s_brev_b32 s49, -2
	s_mov_b64 s[22:23], s[6:7]
                                        ; implicit-def: $sgpr18_sgpr19
	s_branch .LBB15_81
.LBB15_80:                              ;   in Loop: Header=BB15_81 Depth=1
	s_or_b64 exec, exec, s[0:1]
	s_add_i32 s47, s47, -1
	s_waitcnt vmcnt(0)
	v_cmp_eq_u32_e32 vcc, s33, v15
	s_or_b64 s[16:17], vcc, s[16:17]
	s_andn2_b64 s[0:1], s[18:19], exec
	s_and_b64 s[4:5], s[22:23], exec
	v_add_u32_e32 v8, s37, v8
	v_add_u32_e32 v9, s37, v9
	s_or_b64 s[18:19], s[0:1], s[4:5]
	v_mov_b32_e32 v10, v15
	s_andn2_b64 exec, exec, s[16:17]
	s_cbranch_execz .LBB15_117
.LBB15_81:                              ; =>This Loop Header: Depth=1
                                        ;     Child Loop BB15_97 Depth 2
                                        ;       Child Loop BB15_106 Depth 3
	v_add_u32_e32 v12, v10, v5
	v_mul_lo_u32 v30, v12, s33
	v_add_u32_e32 v12, v30, v10
	v_ashrrev_i32_e32 v13, 31, v12
	v_lshl_add_u64 v[16:17], v[12:13], 3, s[20:21]
	global_load_dwordx2 v[14:15], v[16:17], off
	s_mov_b64 s[4:5], -1
	s_and_b64 vcc, exec, s[14:15]
	s_mov_b64 s[0:1], 0
                                        ; implicit-def: $vgpr12_vgpr13
	s_cbranch_vccz .LBB15_84
; %bb.82:                               ;   in Loop: Header=BB15_81 Depth=1
	s_mov_b64 s[24:25], 0
	s_and_b64 vcc, exec, s[4:5]
	s_cbranch_vccnz .LBB15_93
.LBB15_83:                              ;   in Loop: Header=BB15_81 Depth=1
                                        ; implicit-def: $vgpr15
	s_and_saveexec_b64 s[4:5], s[0:1]
	s_xor_b64 s[38:39], exec, s[4:5]
	s_cbranch_execnz .LBB15_94
	s_branch .LBB15_115
.LBB15_84:                              ;   in Loop: Header=BB15_81 Depth=1
	s_waitcnt vmcnt(0)
	v_cmp_gt_f32_e32 vcc, 0, v14
                                        ; implicit-def: $vgpr18
	s_nop 1
	v_cndmask_b32_e64 v12, v14, -v14, vcc
	v_cmp_gt_f32_e32 vcc, 0, v15
	s_nop 1
	v_cndmask_b32_e64 v13, v15, -v15, vcc
	v_cmp_ngt_f32_e32 vcc, v12, v13
	s_and_saveexec_b64 s[0:1], vcc
	s_xor_b64 s[4:5], exec, s[0:1]
	s_cbranch_execz .LBB15_88
; %bb.85:                               ;   in Loop: Header=BB15_81 Depth=1
	v_mov_b32_e32 v18, 0
	v_cmp_neq_f32_e32 vcc, 0, v15
	s_and_saveexec_b64 s[24:25], vcc
	s_cbranch_execz .LBB15_87
; %bb.86:                               ;   in Loop: Header=BB15_81 Depth=1
	v_div_scale_f32 v18, s[0:1], v13, v13, v12
	v_rcp_f32_e32 v19, v18
	v_div_scale_f32 v20, vcc, v12, v13, v12
	v_fma_f32 v21, -v18, v19, 1.0
	v_fmac_f32_e32 v19, v21, v19
	v_mul_f32_e32 v21, v20, v19
	v_fma_f32 v22, -v18, v21, v20
	v_fmac_f32_e32 v21, v22, v19
	v_fma_f32 v18, -v18, v21, v20
	v_div_fmas_f32 v18, v18, v19, v21
	v_div_fixup_f32 v12, v18, v13, v12
	v_fma_f32 v12, v12, v12, 1.0
	v_mul_f32_e32 v18, 0x4f800000, v12
	v_cmp_gt_f32_e32 vcc, s48, v12
	s_nop 1
	v_cndmask_b32_e32 v12, v12, v18, vcc
	v_sqrt_f32_e32 v18, v12
	s_nop 0
	v_add_u32_e32 v19, -1, v18
	v_fma_f32 v20, -v19, v18, v12
	v_cmp_ge_f32_e64 s[0:1], 0, v20
	v_add_u32_e32 v20, 1, v18
	s_nop 0
	v_cndmask_b32_e64 v19, v18, v19, s[0:1]
	v_fma_f32 v18, -v20, v18, v12
	v_cmp_lt_f32_e64 s[0:1], 0, v18
	s_nop 1
	v_cndmask_b32_e64 v18, v19, v20, s[0:1]
	v_mul_f32_e32 v19, 0x37800000, v18
	v_cndmask_b32_e32 v18, v18, v19, vcc
	v_cmp_class_f32_e32 vcc, v12, v11
	s_nop 1
	v_cndmask_b32_e32 v12, v18, v12, vcc
	v_mul_f32_e32 v18, v13, v12
.LBB15_87:                              ;   in Loop: Header=BB15_81 Depth=1
	s_or_b64 exec, exec, s[24:25]
                                        ; implicit-def: $vgpr12
                                        ; implicit-def: $vgpr13
.LBB15_88:                              ;   in Loop: Header=BB15_81 Depth=1
	s_andn2_saveexec_b64 s[4:5], s[4:5]
	s_cbranch_execz .LBB15_90
; %bb.89:                               ;   in Loop: Header=BB15_81 Depth=1
	v_div_scale_f32 v18, s[0:1], v12, v12, v13
	v_rcp_f32_e32 v19, v18
	v_div_scale_f32 v20, vcc, v13, v12, v13
	v_fma_f32 v21, -v18, v19, 1.0
	v_fmac_f32_e32 v19, v21, v19
	v_mul_f32_e32 v21, v20, v19
	v_fma_f32 v22, -v18, v21, v20
	v_fmac_f32_e32 v21, v22, v19
	v_fma_f32 v18, -v18, v21, v20
	v_div_fmas_f32 v18, v18, v19, v21
	v_div_fixup_f32 v13, v18, v12, v13
	v_fma_f32 v13, v13, v13, 1.0
	v_mul_f32_e32 v18, 0x4f800000, v13
	v_cmp_gt_f32_e32 vcc, s48, v13
	s_nop 1
	v_cndmask_b32_e32 v13, v13, v18, vcc
	v_sqrt_f32_e32 v18, v13
	s_nop 0
	v_add_u32_e32 v19, -1, v18
	v_fma_f32 v20, -v19, v18, v13
	v_cmp_ge_f32_e64 s[0:1], 0, v20
	v_add_u32_e32 v20, 1, v18
	s_nop 0
	v_cndmask_b32_e64 v19, v18, v19, s[0:1]
	v_fma_f32 v18, -v20, v18, v13
	v_cmp_lt_f32_e64 s[0:1], 0, v18
	s_nop 1
	v_cndmask_b32_e64 v18, v19, v20, s[0:1]
	v_mul_f32_e32 v19, 0x37800000, v18
	v_cndmask_b32_e32 v18, v18, v19, vcc
	v_cmp_class_f32_e32 vcc, v13, v11
	s_nop 1
	v_cndmask_b32_e32 v13, v18, v13, vcc
	v_mul_f32_e32 v18, v12, v13
.LBB15_90:                              ;   in Loop: Header=BB15_81 Depth=1
	s_or_b64 exec, exec, s[4:5]
	v_cvt_f64_f32_e32 v[12:13], v18
	v_mov_b32_e32 v18, s60
	v_cmp_ge_f64_e32 vcc, v[6:7], v[12:13]
	v_mov_b32_e32 v13, s35
	s_nop 0
	v_cndmask_b32_e32 v12, v15, v18, vcc
	v_cndmask_b32_e32 v13, v14, v13, vcc
	s_and_saveexec_b64 s[0:1], s[2:3]
	s_cbranch_execz .LBB15_92
; %bb.91:                               ;   in Loop: Header=BB15_81 Depth=1
	v_mov_b32_e32 v18, v13
	v_mov_b32_e32 v19, v12
	global_store_dwordx2 v[16:17], v[18:19], off
.LBB15_92:                              ;   in Loop: Header=BB15_81 Depth=1
	s_or_b64 exec, exec, s[0:1]
	s_mov_b64 s[0:1], -1
	s_mov_b64 s[24:25], 0
	s_branch .LBB15_83
.LBB15_93:                              ;   in Loop: Header=BB15_81 Depth=1
	s_waitcnt vmcnt(0)
	v_mov_b32_e32 v13, v14
	v_bitop3_b32 v14, v14, s49, v15 bitop3:0xc8
	v_cmp_ne_u32_e32 vcc, 0, v14
	s_andn2_b64 s[0:1], s[0:1], exec
	s_and_b64 s[4:5], vcc, exec
	v_mov_b32_e32 v12, v15
	s_mov_b64 s[24:25], -1
	s_or_b64 s[0:1], s[0:1], s[4:5]
                                        ; implicit-def: $vgpr15
	s_and_saveexec_b64 s[4:5], s[0:1]
	s_xor_b64 s[38:39], exec, s[4:5]
	s_cbranch_execz .LBB15_115
.LBB15_94:                              ;   in Loop: Header=BB15_81 Depth=1
	s_waitcnt vmcnt(0)
	v_add_u32_e32 v15, 1, v10
	v_add_u32_e32 v14, v15, v0
	v_cmp_gt_i32_e32 vcc, s33, v14
	s_and_saveexec_b64 s[40:41], vcc
	s_cbranch_execz .LBB15_114
; %bb.95:                               ;   in Loop: Header=BB15_81 Depth=1
	v_mul_f32_e32 v16, v12, v12
	v_fmac_f32_e32 v16, v13, v13
	v_div_scale_f32 v17, s[0:1], v16, v16, 1.0
	v_rcp_f32_e32 v18, v17
	v_div_scale_f32 v19, vcc, 1.0, v16, 1.0
	v_cmp_gt_i32_e64 s[4:5], s33, v15
	v_fma_f32 v20, -v17, v18, 1.0
	v_fmac_f32_e32 v18, v20, v18
	v_mul_f32_e32 v20, v19, v18
	v_fma_f32 v21, -v17, v20, v19
	v_fmac_f32_e32 v20, v21, v18
	v_fma_f32 v17, -v17, v20, v19
	v_div_fmas_f32 v17, v17, v18, v20
	v_div_fixup_f32 v16, v17, v16, 1.0
	v_mov_b32_e32 v17, v16
	v_mov_b32_e32 v18, v12
	;; [unrolled: 1-line block ×4, first 2 shown]
	s_mov_b64 s[42:43], 0
	v_mov_b32_e32 v31, v9
	s_branch .LBB15_97
.LBB15_96:                              ;   in Loop: Header=BB15_97 Depth=2
	s_or_b64 exec, exec, s[44:45]
	v_add_u32_e32 v14, 32, v14
	v_cmp_le_i32_e32 vcc, s33, v14
	s_or_b64 s[42:43], vcc, s[42:43]
	v_add_u32_e32 v31, s46, v31
	s_andn2_b64 exec, exec, s[42:43]
	s_cbranch_execz .LBB15_114
.LBB15_97:                              ;   Parent Loop BB15_81 Depth=1
                                        ; =>  This Loop Header: Depth=2
                                        ;       Child Loop BB15_106 Depth 3
	s_and_b64 vcc, exec, s[12:13]
	v_add_u32_e32 v22, v14, v30
	s_cbranch_vccz .LBB15_112
; %bb.98:                               ;   in Loop: Header=BB15_97 Depth=2
	v_add_u32_e32 v20, v14, v30
	s_cbranch_execnz .LBB15_100
.LBB15_99:                              ;   in Loop: Header=BB15_97 Depth=2
	v_add_u32_e32 v20, v14, v5
	v_mad_u64_u32 v[20:21], s[0:1], v20, s33, v[10:11]
.LBB15_100:                             ;   in Loop: Header=BB15_97 Depth=2
	v_ashrrev_i32_e32 v21, 31, v20
	v_lshl_add_u64 v[20:21], v[20:21], 3, s[20:21]
	global_load_dwordx2 v[20:21], v[20:21], off
	s_and_b64 vcc, exec, s[12:13]
	s_cbranch_vccz .LBB15_113
; %bb.101:                              ;   in Loop: Header=BB15_97 Depth=2
	s_cbranch_execnz .LBB15_103
.LBB15_102:                             ;   in Loop: Header=BB15_97 Depth=2
	v_add_u32_e32 v22, v14, v5
	v_mad_u64_u32 v[22:23], s[0:1], v22, s33, v[10:11]
.LBB15_103:                             ;   in Loop: Header=BB15_97 Depth=2
	s_waitcnt vmcnt(0)
	v_xor_b32_e32 v25, 0x80000000, v20
	v_mov_b32_e32 v24, v21
	v_pk_mul_f32 v[24:25], v[18:19], v[24:25]
	v_ashrrev_i32_e32 v23, 31, v22
	v_pk_fma_f32 v[20:21], v[20:21], v[12:13], v[24:25]
	v_lshl_add_u64 v[22:23], v[22:23], 3, s[20:21]
	v_pk_mul_f32 v[20:21], v[16:17], v[20:21]
	global_store_dwordx2 v[22:23], v[20:21], off
	s_and_saveexec_b64 s[44:45], s[4:5]
	s_cbranch_execz .LBB15_96
; %bb.104:                              ;   in Loop: Header=BB15_97 Depth=2
	v_pk_add_f32 v[22:23], v[20:21], 0 neg_lo:[1,1] neg_hi:[1,1]
	s_mov_b32 s50, s47
	v_pk_mov_b32 v[22:23], v[20:21], v[22:23] op_sel:[1,0]
	v_mov_b32_e32 v32, v31
	v_mov_b32_e32 v33, v8
	;; [unrolled: 1-line block ×3, first 2 shown]
	s_branch .LBB15_106
.LBB15_105:                             ;   in Loop: Header=BB15_106 Depth=3
	s_waitcnt vmcnt(0)
	v_pk_fma_f32 v[28:29], v[20:21], v[24:25], v[28:29] op_sel_hi:[1,0,1] neg_lo:[1,0,0] neg_hi:[1,0,0]
	v_ashrrev_i32_e32 v27, 31, v26
	s_add_i32 s50, s50, -1
	v_pk_fma_f32 v[24:25], v[22:23], v[24:25], v[28:29] op_sel:[0,1,0]
	v_lshl_add_u64 v[26:27], v[26:27], 3, s[20:21]
	v_add_u32_e32 v34, 1, v34
	v_add_u32_e32 v33, 1, v33
	s_cmp_eq_u32 s50, 0
	v_add_u32_e32 v32, 1, v32
	global_store_dwordx2 v[26:27], v[24:25], off
	s_cbranch_scc1 .LBB15_96
.LBB15_106:                             ;   Parent Loop BB15_81 Depth=1
                                        ;     Parent Loop BB15_97 Depth=2
                                        ; =>    This Inner Loop Header: Depth=3
	v_cndmask_b32_e64 v24, 0, 1, s[12:13]
	v_cmp_ne_u32_e64 s[0:1], 1, v24
	s_andn2_b64 vcc, exec, s[12:13]
	v_add_u32_e32 v35, v34, v5
	v_mov_b32_e32 v24, v33
	s_cbranch_vccnz .LBB15_108
; %bb.107:                              ;   in Loop: Header=BB15_106 Depth=3
	v_mad_u64_u32 v[24:25], s[52:53], v35, s33, v[10:11]
.LBB15_108:                             ;   in Loop: Header=BB15_106 Depth=3
	v_ashrrev_i32_e32 v25, 31, v24
	v_lshl_add_u64 v[24:25], v[24:25], 3, s[20:21]
	global_load_dwordx2 v[24:25], v[24:25], off
	s_and_b64 vcc, exec, s[0:1]
	v_mov_b32_e32 v26, v32
	s_cbranch_vccnz .LBB15_110
; %bb.109:                              ;   in Loop: Header=BB15_106 Depth=3
	v_mad_u64_u32 v[26:27], s[52:53], v35, s33, v[14:15]
.LBB15_110:                             ;   in Loop: Header=BB15_106 Depth=3
	v_ashrrev_i32_e32 v27, 31, v26
	v_lshl_add_u64 v[26:27], v[26:27], 3, s[20:21]
	global_load_dwordx2 v[28:29], v[26:27], off
	s_and_b64 vcc, exec, s[0:1]
	v_mov_b32_e32 v26, v32
	s_cbranch_vccnz .LBB15_105
; %bb.111:                              ;   in Loop: Header=BB15_106 Depth=3
	v_mad_u64_u32 v[26:27], s[0:1], v35, s33, v[14:15]
	s_branch .LBB15_105
.LBB15_112:                             ;   in Loop: Header=BB15_97 Depth=2
                                        ; implicit-def: $vgpr20
	s_branch .LBB15_99
.LBB15_113:                             ;   in Loop: Header=BB15_97 Depth=2
                                        ; implicit-def: $vgpr22
	s_branch .LBB15_102
.LBB15_114:                             ;   in Loop: Header=BB15_81 Depth=1
	s_or_b64 exec, exec, s[40:41]
	s_andn2_b64 s[24:25], s[24:25], exec
.LBB15_115:                             ;   in Loop: Header=BB15_81 Depth=1
	s_or_b64 exec, exec, s[38:39]
	s_andn2_b64 s[0:1], s[22:23], exec
	s_and_b64 s[4:5], s[22:23], exec
	s_or_b64 s[22:23], s[0:1], s[4:5]
	s_and_saveexec_b64 s[0:1], s[24:25]
	s_cbranch_execz .LBB15_80
; %bb.116:                              ;   in Loop: Header=BB15_81 Depth=1
	s_waitcnt vmcnt(0)
	v_add_u32_e32 v15, 1, v10
	s_or_b64 s[22:23], s[22:23], exec
	s_branch .LBB15_80
.LBB15_117:
	s_or_b64 exec, exec, s[16:17]
	s_andn2_b64 s[0:1], s[6:7], exec
	s_and_b64 s[2:3], s[18:19], exec
	s_or_b64 s[6:7], s[0:1], s[2:3]
.LBB15_118:
	s_or_b64 exec, exec, s[10:11]
	v_add_u32_e32 v12, 1, v4
	v_cmp_lt_i32_e32 vcc, v12, v1
	s_and_saveexec_b64 s[10:11], vcc
	s_cbranch_execz .LBB15_142
; %bb.119:
	v_mul_lo_u32 v13, v4, s33
	v_mul_lo_u32 v4, s33, v13
	s_mul_i32 s23, s33, s33
	v_add_u32_e32 v14, s33, v4
	v_mul_lo_u32 v4, s23, v12
	s_cmp_lg_u32 s36, 0
	v_add3_u32 v15, v4, s33, v0
	v_cndmask_b32_e64 v4, 0, 1, s[8:9]
	v_cmp_gt_i32_e64 s[0:1], s33, v0
	s_cselect_b64 s[12:13], -1, 0
	s_add_i32 s22, s33, 1
	s_add_i32 s24, s33, -1
	s_mov_b64 s[14:15], 0
	v_cmp_ne_u32_e64 s[2:3], 1, v4
	s_branch .LBB15_121
.LBB15_120:                             ;   in Loop: Header=BB15_121 Depth=1
	v_add_u32_e32 v12, 1, v12
	v_cmp_ge_i32_e32 vcc, v12, v1
	s_or_b64 s[14:15], vcc, s[14:15]
	v_add_u32_e32 v15, s23, v15
	s_andn2_b64 exec, exec, s[14:15]
	s_cbranch_execz .LBB15_142
.LBB15_121:                             ; =>This Loop Header: Depth=1
                                        ;     Child Loop BB15_124 Depth 2
                                        ;       Child Loop BB15_127 Depth 3
                                        ;         Child Loop BB15_130 Depth 4
	s_and_b64 vcc, exec, s[2:3]
	s_cbranch_vccnz .LBB15_120
; %bb.122:                              ;   in Loop: Header=BB15_121 Depth=1
	v_mul_lo_u32 v16, v12, s33
	s_mov_b32 s35, 0
	s_mov_b32 s25, s24
	v_mov_b32_e32 v17, v15
	v_mov_b32_e32 v18, v14
	s_branch .LBB15_124
.LBB15_123:                             ;   in Loop: Header=BB15_124 Depth=2
	s_or_b64 exec, exec, s[8:9]
	s_add_i32 s25, s25, -1
	v_add_u32_e32 v18, s22, v18
	v_add_u32_e32 v17, s33, v17
	s_cmp_eq_u32 s36, s33
	s_mov_b32 s35, s36
	s_cbranch_scc1 .LBB15_120
.LBB15_124:                             ;   Parent Loop BB15_121 Depth=1
                                        ; =>  This Loop Header: Depth=2
                                        ;       Child Loop BB15_127 Depth 3
                                        ;         Child Loop BB15_130 Depth 4
	s_add_i32 s36, s35, 1
	s_and_saveexec_b64 s[8:9], s[0:1]
	s_cbranch_execz .LBB15_123
; %bb.125:                              ;   in Loop: Header=BB15_124 Depth=2
	s_cmp_lt_i32 s36, s33
	v_add_u32_e32 v4, s35, v13
	v_mul_lo_u32 v19, v4, s33
	v_add_u32_e32 v4, s35, v16
	s_cselect_b64 s[4:5], -1, 0
	v_mul_lo_u32 v20, v4, s33
	v_cndmask_b32_e64 v4, 0, 1, s[4:5]
	s_mov_b64 s[16:17], 0
	v_cmp_ne_u32_e64 s[4:5], 1, v4
	v_mov_b32_e32 v21, v17
	v_mov_b32_e32 v22, v0
	s_branch .LBB15_127
.LBB15_126:                             ;   in Loop: Header=BB15_127 Depth=3
	v_add_u32_e32 v22, 32, v22
	v_cmp_le_i32_e32 vcc, s33, v22
	s_or_b64 s[16:17], vcc, s[16:17]
	v_add_u32_e32 v21, 32, v21
	s_andn2_b64 exec, exec, s[16:17]
	s_cbranch_execz .LBB15_123
.LBB15_127:                             ;   Parent Loop BB15_121 Depth=1
                                        ;     Parent Loop BB15_124 Depth=2
                                        ; =>    This Loop Header: Depth=3
                                        ;         Child Loop BB15_130 Depth 4
	s_and_b64 vcc, exec, s[4:5]
	s_cbranch_vccnz .LBB15_126
; %bb.128:                              ;   in Loop: Header=BB15_127 Depth=3
	v_add_u32_e32 v4, v22, v16
	v_mul_lo_u32 v23, v4, s33
	v_add_u32_e32 v24, s35, v23
	v_add_u32_e32 v25, v22, v20
	s_mov_b32 s37, 0
	s_mov_b32 s38, s25
	;; [unrolled: 1-line block ×3, first 2 shown]
	s_branch .LBB15_130
.LBB15_129:                             ;   in Loop: Header=BB15_130 Depth=4
	s_waitcnt vmcnt(2)
	v_pk_add_f32 v[26:27], v[4:5], 0 neg_lo:[1,1] neg_hi:[1,1]
	s_waitcnt vmcnt(0)
	v_pk_fma_f32 v[10:11], v[4:5], v[6:7], v[10:11] op_sel_hi:[1,0,1] neg_lo:[1,0,0] neg_hi:[1,0,0]
	v_pk_mov_b32 v[4:5], v[4:5], v[26:27] op_sel:[1,0]
	v_ashrrev_i32_e32 v9, 31, v8
	s_add_i32 s39, s39, 1
	s_add_i32 s37, s37, s33
	s_add_i32 s38, s38, -1
	v_pk_fma_f32 v[4:5], v[4:5], v[6:7], v[10:11] op_sel:[0,1,0]
	v_lshl_add_u64 v[6:7], v[8:9], 3, s[20:21]
	s_cmp_eq_u32 s38, 0
	global_store_dwordx2 v[6:7], v[4:5], off
	s_cbranch_scc1 .LBB15_126
.LBB15_130:                             ;   Parent Loop BB15_121 Depth=1
                                        ;     Parent Loop BB15_124 Depth=2
                                        ;       Parent Loop BB15_127 Depth=3
                                        ; =>      This Inner Loop Header: Depth=4
	s_and_b64 vcc, exec, s[12:13]
	s_cbranch_vccz .LBB15_138
; %bb.131:                              ;   in Loop: Header=BB15_130 Depth=4
	v_add_u32_e32 v4, s39, v19
	v_mov_b32_e32 v6, v24
	s_cbranch_execnz .LBB15_133
.LBB15_132:                             ;   in Loop: Header=BB15_130 Depth=4
	v_add_u32_e32 v4, s37, v18
	v_mov_b32_e32 v6, v25
.LBB15_133:                             ;   in Loop: Header=BB15_130 Depth=4
	v_ashrrev_i32_e32 v5, 31, v4
	v_lshl_add_u64 v[8:9], v[4:5], 3, s[20:21]
	v_ashrrev_i32_e32 v7, 31, v6
	v_lshl_add_u64 v[10:11], v[6:7], 3, s[20:21]
	global_load_dwordx2 v[4:5], v[8:9], off
	global_load_dwordx2 v[6:7], v[10:11], off
	s_and_b64 vcc, exec, s[12:13]
	v_add_u32_e32 v8, s39, v23
	s_cbranch_vccz .LBB15_139
; %bb.134:                              ;   in Loop: Header=BB15_130 Depth=4
	v_add_u32_e32 v10, s39, v23
	v_add_u32_e32 v9, s37, v21
	s_cbranch_execnz .LBB15_136
.LBB15_135:                             ;   in Loop: Header=BB15_130 Depth=4
	v_add_u32_e32 v10, s37, v21
.LBB15_136:                             ;   in Loop: Header=BB15_130 Depth=4
	v_ashrrev_i32_e32 v11, 31, v10
	v_lshl_add_u64 v[10:11], v[10:11], 3, s[20:21]
	global_load_dwordx2 v[10:11], v[10:11], off
	s_and_b64 vcc, exec, s[12:13]
	s_cbranch_vccz .LBB15_140
; %bb.137:                              ;   in Loop: Header=BB15_130 Depth=4
	s_cbranch_execnz .LBB15_129
	s_branch .LBB15_141
.LBB15_138:                             ;   in Loop: Header=BB15_130 Depth=4
                                        ; implicit-def: $vgpr4
	v_mov_b32_e32 v6, v24
	s_branch .LBB15_132
.LBB15_139:                             ;   in Loop: Header=BB15_130 Depth=4
                                        ; implicit-def: $vgpr10
	v_add_u32_e32 v9, s37, v21
	s_branch .LBB15_135
.LBB15_140:                             ;   in Loop: Header=BB15_130 Depth=4
                                        ; implicit-def: $vgpr8
.LBB15_141:                             ;   in Loop: Header=BB15_130 Depth=4
	v_mov_b32_e32 v8, v9
	s_branch .LBB15_129
.LBB15_142:
	s_or_b64 exec, exec, s[10:11]
	s_orn2_b64 s[2:3], s[6:7], exec
.LBB15_143:
	s_or_b64 exec, exec, s[30:31]
	v_cmp_eq_u32_e32 vcc, 0, v0
	s_and_b64 exec, exec, vcc
	s_cbranch_execz .LBB15_149
; %bb.144:
	v_lshl_add_u64 v[0:1], v[2:3], 2, s[28:29]
	v_mov_b32_e32 v3, 1
	buffer_wbl2 sc1
	s_waitcnt vmcnt(0)
	global_store_dword v[0:1], v3, off sc1
	s_and_b64 exec, exec, s[2:3]
	s_cbranch_execz .LBB15_149
; %bb.145:
	s_mov_b64 s[0:1], exec
	v_add_u32_e32 v0, s34, v2
	s_brev_b32 s2, -2
.LBB15_146:                             ; =>This Inner Loop Header: Depth=1
	s_ff1_i32_b64 s3, s[0:1]
	v_readlane_b32 s6, v0, s3
	s_lshl_b64 s[4:5], 1, s3
	s_min_i32 s2, s2, s6
	s_andn2_b64 s[0:1], s[0:1], s[4:5]
	s_cmp_lg_u64 s[0:1], 0
	s_cbranch_scc1 .LBB15_146
; %bb.147:
	v_mbcnt_lo_u32_b32 v0, exec_lo, 0
	v_mbcnt_hi_u32_b32 v0, exec_hi, v0
	v_cmp_eq_u32_e32 vcc, 0, v0
	s_and_saveexec_b64 s[0:1], vcc
	s_xor_b64 s[0:1], exec, s[0:1]
	s_cbranch_execz .LBB15_149
; %bb.148:
	v_mov_b32_e32 v0, 0
	v_mov_b32_e32 v1, s2
	global_atomic_smin v0, v1, s[26:27]
.LBB15_149:
	s_endpgm
	.section	.rodata,"a",@progbits
	.p2align	6, 0x0
	.amdhsa_kernel _ZN9rocsparseL15bsrilu0_generalILj128ELj32ELb0E21rocsparse_complex_numIfEEEv20rocsparse_direction_iPKiS5_PT2_S5_iPiS5_S8_21rocsparse_index_base_imNS_24const_host_device_scalarIfEENSA_IdEENSA_IS6_EEb
		.amdhsa_group_segment_fixed_size 0
		.amdhsa_private_segment_fixed_size 0
		.amdhsa_kernarg_size 116
		.amdhsa_user_sgpr_count 2
		.amdhsa_user_sgpr_dispatch_ptr 0
		.amdhsa_user_sgpr_queue_ptr 0
		.amdhsa_user_sgpr_kernarg_segment_ptr 1
		.amdhsa_user_sgpr_dispatch_id 0
		.amdhsa_user_sgpr_kernarg_preload_length 0
		.amdhsa_user_sgpr_kernarg_preload_offset 0
		.amdhsa_user_sgpr_private_segment_size 0
		.amdhsa_uses_dynamic_stack 0
		.amdhsa_enable_private_segment 0
		.amdhsa_system_sgpr_workgroup_id_x 1
		.amdhsa_system_sgpr_workgroup_id_y 0
		.amdhsa_system_sgpr_workgroup_id_z 0
		.amdhsa_system_sgpr_workgroup_info 0
		.amdhsa_system_vgpr_workitem_id 0
		.amdhsa_next_free_vgpr 46
		.amdhsa_next_free_sgpr 70
		.amdhsa_accum_offset 48
		.amdhsa_reserve_vcc 1
		.amdhsa_float_round_mode_32 0
		.amdhsa_float_round_mode_16_64 0
		.amdhsa_float_denorm_mode_32 3
		.amdhsa_float_denorm_mode_16_64 3
		.amdhsa_dx10_clamp 1
		.amdhsa_ieee_mode 1
		.amdhsa_fp16_overflow 0
		.amdhsa_tg_split 0
		.amdhsa_exception_fp_ieee_invalid_op 0
		.amdhsa_exception_fp_denorm_src 0
		.amdhsa_exception_fp_ieee_div_zero 0
		.amdhsa_exception_fp_ieee_overflow 0
		.amdhsa_exception_fp_ieee_underflow 0
		.amdhsa_exception_fp_ieee_inexact 0
		.amdhsa_exception_int_div_zero 0
	.end_amdhsa_kernel
	.section	.text._ZN9rocsparseL15bsrilu0_generalILj128ELj32ELb0E21rocsparse_complex_numIfEEEv20rocsparse_direction_iPKiS5_PT2_S5_iPiS5_S8_21rocsparse_index_base_imNS_24const_host_device_scalarIfEENSA_IdEENSA_IS6_EEb,"axG",@progbits,_ZN9rocsparseL15bsrilu0_generalILj128ELj32ELb0E21rocsparse_complex_numIfEEEv20rocsparse_direction_iPKiS5_PT2_S5_iPiS5_S8_21rocsparse_index_base_imNS_24const_host_device_scalarIfEENSA_IdEENSA_IS6_EEb,comdat
.Lfunc_end15:
	.size	_ZN9rocsparseL15bsrilu0_generalILj128ELj32ELb0E21rocsparse_complex_numIfEEEv20rocsparse_direction_iPKiS5_PT2_S5_iPiS5_S8_21rocsparse_index_base_imNS_24const_host_device_scalarIfEENSA_IdEENSA_IS6_EEb, .Lfunc_end15-_ZN9rocsparseL15bsrilu0_generalILj128ELj32ELb0E21rocsparse_complex_numIfEEEv20rocsparse_direction_iPKiS5_PT2_S5_iPiS5_S8_21rocsparse_index_base_imNS_24const_host_device_scalarIfEENSA_IdEENSA_IS6_EEb
                                        ; -- End function
	.set _ZN9rocsparseL15bsrilu0_generalILj128ELj32ELb0E21rocsparse_complex_numIfEEEv20rocsparse_direction_iPKiS5_PT2_S5_iPiS5_S8_21rocsparse_index_base_imNS_24const_host_device_scalarIfEENSA_IdEENSA_IS6_EEb.num_vgpr, 46
	.set _ZN9rocsparseL15bsrilu0_generalILj128ELj32ELb0E21rocsparse_complex_numIfEEEv20rocsparse_direction_iPKiS5_PT2_S5_iPiS5_S8_21rocsparse_index_base_imNS_24const_host_device_scalarIfEENSA_IdEENSA_IS6_EEb.num_agpr, 0
	.set _ZN9rocsparseL15bsrilu0_generalILj128ELj32ELb0E21rocsparse_complex_numIfEEEv20rocsparse_direction_iPKiS5_PT2_S5_iPiS5_S8_21rocsparse_index_base_imNS_24const_host_device_scalarIfEENSA_IdEENSA_IS6_EEb.numbered_sgpr, 70
	.set _ZN9rocsparseL15bsrilu0_generalILj128ELj32ELb0E21rocsparse_complex_numIfEEEv20rocsparse_direction_iPKiS5_PT2_S5_iPiS5_S8_21rocsparse_index_base_imNS_24const_host_device_scalarIfEENSA_IdEENSA_IS6_EEb.num_named_barrier, 0
	.set _ZN9rocsparseL15bsrilu0_generalILj128ELj32ELb0E21rocsparse_complex_numIfEEEv20rocsparse_direction_iPKiS5_PT2_S5_iPiS5_S8_21rocsparse_index_base_imNS_24const_host_device_scalarIfEENSA_IdEENSA_IS6_EEb.private_seg_size, 0
	.set _ZN9rocsparseL15bsrilu0_generalILj128ELj32ELb0E21rocsparse_complex_numIfEEEv20rocsparse_direction_iPKiS5_PT2_S5_iPiS5_S8_21rocsparse_index_base_imNS_24const_host_device_scalarIfEENSA_IdEENSA_IS6_EEb.uses_vcc, 1
	.set _ZN9rocsparseL15bsrilu0_generalILj128ELj32ELb0E21rocsparse_complex_numIfEEEv20rocsparse_direction_iPKiS5_PT2_S5_iPiS5_S8_21rocsparse_index_base_imNS_24const_host_device_scalarIfEENSA_IdEENSA_IS6_EEb.uses_flat_scratch, 0
	.set _ZN9rocsparseL15bsrilu0_generalILj128ELj32ELb0E21rocsparse_complex_numIfEEEv20rocsparse_direction_iPKiS5_PT2_S5_iPiS5_S8_21rocsparse_index_base_imNS_24const_host_device_scalarIfEENSA_IdEENSA_IS6_EEb.has_dyn_sized_stack, 0
	.set _ZN9rocsparseL15bsrilu0_generalILj128ELj32ELb0E21rocsparse_complex_numIfEEEv20rocsparse_direction_iPKiS5_PT2_S5_iPiS5_S8_21rocsparse_index_base_imNS_24const_host_device_scalarIfEENSA_IdEENSA_IS6_EEb.has_recursion, 0
	.set _ZN9rocsparseL15bsrilu0_generalILj128ELj32ELb0E21rocsparse_complex_numIfEEEv20rocsparse_direction_iPKiS5_PT2_S5_iPiS5_S8_21rocsparse_index_base_imNS_24const_host_device_scalarIfEENSA_IdEENSA_IS6_EEb.has_indirect_call, 0
	.section	.AMDGPU.csdata,"",@progbits
; Kernel info:
; codeLenInByte = 4428
; TotalNumSgprs: 76
; NumVgprs: 46
; NumAgprs: 0
; TotalNumVgprs: 46
; ScratchSize: 0
; MemoryBound: 0
; FloatMode: 240
; IeeeMode: 1
; LDSByteSize: 0 bytes/workgroup (compile time only)
; SGPRBlocks: 9
; VGPRBlocks: 5
; NumSGPRsForWavesPerEU: 76
; NumVGPRsForWavesPerEU: 46
; AccumOffset: 48
; Occupancy: 8
; WaveLimiterHint : 1
; COMPUTE_PGM_RSRC2:SCRATCH_EN: 0
; COMPUTE_PGM_RSRC2:USER_SGPR: 2
; COMPUTE_PGM_RSRC2:TRAP_HANDLER: 0
; COMPUTE_PGM_RSRC2:TGID_X_EN: 1
; COMPUTE_PGM_RSRC2:TGID_Y_EN: 0
; COMPUTE_PGM_RSRC2:TGID_Z_EN: 0
; COMPUTE_PGM_RSRC2:TIDIG_COMP_CNT: 0
; COMPUTE_PGM_RSRC3_GFX90A:ACCUM_OFFSET: 11
; COMPUTE_PGM_RSRC3_GFX90A:TG_SPLIT: 0
	.section	.text._ZN9rocsparseL11bsrilu0_2_8ILj64ELj64ELj8E21rocsparse_complex_numIfEEEv20rocsparse_direction_iPKiS5_PT2_S5_iPiS5_S8_21rocsparse_index_base_imNS_24const_host_device_scalarIfEENSA_IdEENSA_IS6_EEb,"axG",@progbits,_ZN9rocsparseL11bsrilu0_2_8ILj64ELj64ELj8E21rocsparse_complex_numIfEEEv20rocsparse_direction_iPKiS5_PT2_S5_iPiS5_S8_21rocsparse_index_base_imNS_24const_host_device_scalarIfEENSA_IdEENSA_IS6_EEb,comdat
	.globl	_ZN9rocsparseL11bsrilu0_2_8ILj64ELj64ELj8E21rocsparse_complex_numIfEEEv20rocsparse_direction_iPKiS5_PT2_S5_iPiS5_S8_21rocsparse_index_base_imNS_24const_host_device_scalarIfEENSA_IdEENSA_IS6_EEb ; -- Begin function _ZN9rocsparseL11bsrilu0_2_8ILj64ELj64ELj8E21rocsparse_complex_numIfEEEv20rocsparse_direction_iPKiS5_PT2_S5_iPiS5_S8_21rocsparse_index_base_imNS_24const_host_device_scalarIfEENSA_IdEENSA_IS6_EEb
	.p2align	8
	.type	_ZN9rocsparseL11bsrilu0_2_8ILj64ELj64ELj8E21rocsparse_complex_numIfEEEv20rocsparse_direction_iPKiS5_PT2_S5_iPiS5_S8_21rocsparse_index_base_imNS_24const_host_device_scalarIfEENSA_IdEENSA_IS6_EEb,@function
_ZN9rocsparseL11bsrilu0_2_8ILj64ELj64ELj8E21rocsparse_complex_numIfEEEv20rocsparse_direction_iPKiS5_PT2_S5_iPiS5_S8_21rocsparse_index_base_imNS_24const_host_device_scalarIfEENSA_IdEENSA_IS6_EEb: ; @_ZN9rocsparseL11bsrilu0_2_8ILj64ELj64ELj8E21rocsparse_complex_numIfEEEv20rocsparse_direction_iPKiS5_PT2_S5_iPiS5_S8_21rocsparse_index_base_imNS_24const_host_device_scalarIfEENSA_IdEENSA_IS6_EEb
; %bb.0:
	s_load_dword s3, s[0:1], 0x70
	s_load_dwordx2 s[34:35], s[0:1], 0x48
	s_load_dwordx8 s[24:31], s[0:1], 0x50
	s_waitcnt lgkmcnt(0)
	s_bitcmp1_b32 s3, 0
	s_cselect_b64 s[4:5], -1, 0
	s_cmp_eq_u32 s35, 0
	s_cselect_b64 s[12:13], -1, 0
	s_cmp_lg_u32 s35, 0
	s_cselect_b64 s[6:7], -1, 0
	s_or_b64 s[14:15], s[12:13], s[4:5]
	s_xor_b64 s[8:9], s[14:15], -1
	s_and_b64 s[10:11], s[12:13], exec
	s_cselect_b32 s11, 0, s29
	s_cselect_b32 s10, 0, s28
	s_and_b64 vcc, exec, s[14:15]
	s_cbranch_vccnz .LBB16_2
; %bb.1:
	s_load_dword s3, s[26:27], 0x0
	s_mov_b64 s[10:11], s[28:29]
	s_waitcnt lgkmcnt(0)
	v_mov_b32_e32 v7, s3
	s_andn2_b64 vcc, exec, s[8:9]
	v_mov_b64_e32 v[2:3], s[10:11]
	s_cbranch_vccz .LBB16_3
	s_branch .LBB16_4
.LBB16_2:
	v_mov_b32_e32 v1, s26
	v_cndmask_b32_e64 v7, v1, 0, s[12:13]
	s_andn2_b64 vcc, exec, s[8:9]
	v_mov_b64_e32 v[2:3], s[10:11]
	s_cbranch_vccnz .LBB16_4
.LBB16_3:
	v_mov_b64_e32 v[2:3], s[28:29]
	flat_load_dwordx2 v[2:3], v[2:3]
.LBB16_4:
	s_mov_b32 s35, 0
	v_cndmask_b32_e64 v1, 0, 1, s[6:7]
	v_cmp_ne_u32_e64 s[14:15], 1, v1
	s_andn2_b64 vcc, exec, s[6:7]
	s_mov_b32 s56, s35
	s_cbranch_vccnz .LBB16_10
; %bb.5:
	s_xor_b64 s[6:7], s[4:5], -1
	v_cndmask_b32_e64 v1, 0, 1, s[6:7]
	v_cmp_ne_u32_e64 s[4:5], 1, v1
	s_andn2_b64 vcc, exec, s[6:7]
	s_mov_b32 s35, s30
	s_cbranch_vccnz .LBB16_7
; %bb.6:
	s_load_dword s35, s[30:31], 0x0
.LBB16_7:
	s_and_b64 vcc, exec, s[4:5]
	s_cbranch_vccnz .LBB16_9
; %bb.8:
	s_load_dword s31, s[30:31], 0x4
.LBB16_9:
	s_waitcnt lgkmcnt(0)
	s_mov_b32 s56, s31
.LBB16_10:
	s_load_dwordx4 s[28:31], s[0:1], 0x30
	s_load_dwordx2 s[26:27], s[0:1], 0x40
	s_mov_b32 s3, 0
	s_lshl_b64 s[2:3], s[2:3], 2
	s_waitcnt lgkmcnt(0)
	s_add_u32 s2, s30, s2
	s_addc_u32 s3, s31, s3
	s_load_dword s30, s[2:3], 0x0
	s_load_dwordx8 s[16:23], s[0:1], 0x8
	s_waitcnt lgkmcnt(0)
	s_ashr_i32 s31, s30, 31
	s_lshl_b64 s[36:37], s[30:31], 2
	s_add_u32 s2, s22, s36
	s_addc_u32 s3, s23, s37
	s_load_dword s40, s[2:3], 0x0
	s_waitcnt lgkmcnt(0)
	s_cmp_eq_u32 s40, -1
	s_cbranch_scc1 .LBB16_90
; %bb.11:
	s_add_u32 s2, s16, s36
	s_addc_u32 s3, s17, s37
	s_load_dwordx2 s[4:5], s[2:3], 0x0
	s_load_dwordx2 s[42:43], s[0:1], 0x0
	s_load_dword s31, s[0:1], 0x28
	v_bfe_u32 v1, v0, 10, 10
	s_mov_b64 s[38:39], 0
	s_waitcnt lgkmcnt(0)
	s_sub_i32 s44, s4, s34
	s_sub_i32 s33, s5, s34
	s_cmp_ge_i32 s44, s40
	v_add_u32_e32 v14, 1, v1
	s_cbranch_scc1 .LBB16_62
; %bb.12:
	s_cmp_eq_u32 s42, 0
	s_cselect_b64 vcc, -1, 0
	s_cmp_gt_i32 s31, 0
	s_cselect_b64 s[6:7], -1, 0
	s_add_u32 s0, s0, 0x78
	v_and_b32_e32 v6, 0x3ff, v0
	s_addc_u32 s1, s1, 0
	s_add_i32 s43, s43, 1
	v_max_u32_e32 v8, v6, v1
	s_cmp_lg_u32 s31, 1
	s_movk_i32 s41, 0x48
	v_lshlrev_b32_e32 v4, 3, v6
	v_cmp_gt_u32_e64 s[2:3], s31, v8
	s_cselect_b64 s[8:9], -1, 0
	s_and_b32 s57, s31, 0x7ffffffe
	v_cndmask_b32_e64 v8, 0, 1, s[6:7]
	v_add_u32_e32 v15, 0x240, v4
	v_mad_u32_u24 v17, v1, s41, v4
	s_bitcmp1_b32 s31, 0
	v_cndmask_b32_e64 v9, 0, 1, s[8:9]
	v_cmp_ne_u32_e64 s[6:7], 1, v8
	v_mbcnt_lo_u32_b32 v8, -1, 0
	v_mul_u32_u24_e32 v5, 0x48, v1
	v_mad_u32_u24 v16, v1, s41, v15
	v_cmp_eq_u32_e64 s[4:5], 0, v1
	v_add_u32_e32 v18, s44, v6
	v_cndmask_b32_e32 v4, v1, v6, vcc
	v_cndmask_b32_e32 v6, v6, v1, vcc
	s_cselect_b64 s[46:47], -1, 0
	v_add_u32_e32 v19, 1, v1
	v_mad_u32_u24 v20, v1, s41, s41
	v_add_u32_e32 v21, 0x288, v17
	v_mov_b32_e32 v22, 0
	v_cmp_ne_u32_e64 s[8:9], 1, v9
	v_mbcnt_hi_u32_b32 v23, -1, v8
	s_branch .LBB16_15
.LBB16_13:                              ;   in Loop: Header=BB16_15 Depth=1
	s_mov_b64 s[38:39], -1
.LBB16_14:                              ;   in Loop: Header=BB16_15 Depth=1
	s_add_i32 s44, s44, 1
	s_cmp_lt_i32 s44, s40
	s_cselect_b64 s[12:13], -1, 0
	s_and_b64 s[10:11], s[10:11], s[12:13]
	s_and_b64 vcc, exec, s[10:11]
	s_cbranch_vccz .LBB16_62
.LBB16_15:                              ; =>This Loop Header: Depth=1
                                        ;     Child Loop BB16_19 Depth 2
                                        ;     Child Loop BB16_26 Depth 2
	;; [unrolled: 1-line block ×3, first 2 shown]
                                        ;       Child Loop BB16_51 Depth 3
                                        ;       Child Loop BB16_59 Depth 3
	s_ashr_i32 s45, s44, 31
	s_lshl_b64 s[10:11], s[44:45], 2
	s_add_u32 s10, s18, s10
	s_addc_u32 s11, s19, s11
	global_load_dword v9, v22, s[10:11]
	v_mov_b32_e32 v8, 0
	s_waitcnt vmcnt(0)
	v_readfirstlane_b32 s12, v9
	v_mov_b32_e32 v9, 0
	s_and_saveexec_b64 s[10:11], s[2:3]
	s_cbranch_execz .LBB16_17
; %bb.16:                               ;   in Loop: Header=BB16_15 Depth=1
	s_mul_i32 s13, s44, s31
	v_add_u32_e32 v8, s13, v4
	v_mad_u64_u32 v[8:9], s[48:49], v8, s31, v[6:7]
	v_mov_b32_e32 v9, v22
	v_lshl_add_u64 v[8:9], v[8:9], 3, s[20:21]
	global_load_dwordx2 v[8:9], v[8:9], off
.LBB16_17:                              ;   in Loop: Header=BB16_15 Depth=1
	s_or_b64 exec, exec, s[10:11]
	s_sub_i32 s10, s12, s34
	s_ashr_i32 s11, s10, 31
	s_lshl_b64 s[12:13], s[10:11], 2
	s_add_u32 s10, s22, s12
	s_addc_u32 s11, s23, s13
	global_load_dword v10, v22, s[10:11]
	s_waitcnt vmcnt(1)
	ds_write_b64 v16, v[8:9]
	s_waitcnt vmcnt(0)
	v_cmp_eq_u32_e32 vcc, -1, v10
	v_readfirstlane_b32 s45, v10
	v_cmp_ne_u32_e64 s[10:11], -1, v10
	s_cbranch_vccnz .LBB16_13
; %bb.18:                               ;   in Loop: Header=BB16_15 Depth=1
	s_add_u32 s48, s16, s12
	s_addc_u32 s49, s17, s13
	global_load_dword v8, v22, s[48:49] offset:4
	s_add_u32 s12, s28, s12
	s_addc_u32 s13, s29, s13
	s_waitcnt vmcnt(0)
	v_readfirstlane_b32 s48, v8
.LBB16_19:                              ;   Parent Loop BB16_15 Depth=1
                                        ; =>  This Inner Loop Header: Depth=2
	global_load_dword v8, v22, s[12:13] sc1
	s_waitcnt vmcnt(0)
	v_cmp_eq_u32_e32 vcc, 0, v8
	s_cbranch_vccnz .LBB16_19
; %bb.20:                               ;   in Loop: Header=BB16_15 Depth=1
	v_mov_b32_e32 v8, 0
	v_mov_b32_e32 v9, v8
	s_waitcnt lgkmcnt(0)
	buffer_inv sc1
	s_and_saveexec_b64 s[12:13], s[2:3]
	s_cbranch_execz .LBB16_22
; %bb.21:                               ;   in Loop: Header=BB16_15 Depth=1
	s_mul_i32 s49, s45, s31
	v_add_u32_e32 v8, s49, v4
	v_mad_u64_u32 v[8:9], s[50:51], v8, s31, v[6:7]
	v_mov_b32_e32 v9, v22
	v_lshl_add_u64 v[8:9], v[8:9], 3, s[20:21]
	global_load_dwordx2 v[8:9], v[8:9], off
.LBB16_22:                              ;   in Loop: Header=BB16_15 Depth=1
	s_or_b64 exec, exec, s[12:13]
	s_and_b64 vcc, exec, s[6:7]
	s_waitcnt vmcnt(0)
	ds_write_b64 v17, v[8:9]
	s_waitcnt lgkmcnt(0)
	s_cbranch_vccnz .LBB16_40
; %bb.23:                               ;   in Loop: Header=BB16_15 Depth=1
	s_and_b64 vcc, exec, s[8:9]
	s_mov_b32 s51, 0
	s_cbranch_vccnz .LBB16_34
; %bb.24:                               ;   in Loop: Header=BB16_15 Depth=1
	s_mov_b32 s49, 0
	v_mov_b32_e32 v10, v15
	v_mov_b32_e32 v11, v21
	;; [unrolled: 1-line block ×3, first 2 shown]
	s_mov_b32 s50, 0
	s_branch .LBB16_26
.LBB16_25:                              ;   in Loop: Header=BB16_26 Depth=2
	s_or_b64 exec, exec, s[12:13]
	s_add_i32 s50, s50, 2
	s_addk_i32 s49, 0xa0
	v_add_u32_e32 v12, 0xa0, v12
	v_add_u32_e32 v11, 0x90, v11
	;; [unrolled: 1-line block ×3, first 2 shown]
	s_cmp_eq_u32 s57, s50
	s_mov_b32 s51, s57
	s_waitcnt lgkmcnt(0)
	s_cbranch_scc1 .LBB16_34
.LBB16_26:                              ;   Parent Loop BB16_15 Depth=1
                                        ; =>  This Inner Loop Header: Depth=2
	v_mov_b32_e32 v8, s49
	ds_read_b64 v[8:9], v8
	ds_read_b64 v[24:25], v10
	s_waitcnt lgkmcnt(0)
	v_mul_f32_e32 v13, v9, v9
	v_fmac_f32_e32 v13, v8, v8
	v_div_scale_f32 v28, s[12:13], v13, v13, 1.0
	v_rcp_f32_e32 v29, v28
	v_div_scale_f32 v30, vcc, 1.0, v13, 1.0
	v_xor_b32_e32 v27, 0x80000000, v24
	v_fma_f32 v31, -v28, v29, 1.0
	v_fmac_f32_e32 v29, v31, v29
	v_mul_f32_e32 v31, v30, v29
	v_fma_f32 v32, -v28, v31, v30
	v_fmac_f32_e32 v31, v32, v29
	v_mov_b32_e32 v26, v25
	v_fma_f32 v28, -v28, v31, v30
	v_div_fmas_f32 v28, v28, v29, v31
	v_pk_mul_f32 v[26:27], v[8:9], v[26:27] op_sel:[1,0]
	v_div_fixup_f32 v28, v28, v13, 1.0
	v_pk_fma_f32 v[8:9], v[24:25], v[8:9], v[26:27] op_sel_hi:[1,0,1]
	s_nop 0
	v_pk_mul_f32 v[8:9], v[28:29], v[8:9] op_sel_hi:[0,1]
	s_and_saveexec_b64 s[12:13], s[4:5]
; %bb.27:                               ;   in Loop: Header=BB16_26 Depth=2
	ds_write_b64 v10, v[8:9]
; %bb.28:                               ;   in Loop: Header=BB16_26 Depth=2
	s_or_b64 exec, exec, s[12:13]
	v_add_u32_e32 v13, s50, v1
	v_add_u32_e32 v24, 1, v13
	v_cmp_gt_i32_e32 vcc, s31, v24
	s_and_saveexec_b64 s[12:13], vcc
	s_cbranch_execz .LBB16_30
; %bb.29:                               ;   in Loop: Header=BB16_26 Depth=2
	ds_read_b64 v[24:25], v12
	ds_read_b64 v[26:27], v11
	v_pk_add_f32 v[28:29], v[8:9], 0 neg_lo:[1,1] neg_hi:[1,1]
	s_waitcnt lgkmcnt(0)
	v_pk_fma_f32 v[26:27], v[8:9], v[24:25], v[26:27] op_sel_hi:[1,0,1] neg_lo:[1,0,0] neg_hi:[1,0,0]
	v_pk_mov_b32 v[8:9], v[8:9], v[28:29] op_sel:[1,0]
	s_nop 0
	v_pk_fma_f32 v[8:9], v[8:9], v[24:25], v[26:27] op_sel:[0,1,0]
	ds_write_b64 v11, v[8:9]
.LBB16_30:                              ;   in Loop: Header=BB16_26 Depth=2
	s_or_b64 exec, exec, s[12:13]
	v_mov_b32_e32 v8, s49
	s_waitcnt lgkmcnt(0)
	ds_read_b64 v[8:9], v8 offset:80
	ds_read_b64 v[24:25], v10 offset:72
	s_waitcnt lgkmcnt(0)
	v_mul_f32_e32 v26, v9, v9
	v_fmac_f32_e32 v26, v8, v8
	v_div_scale_f32 v28, s[12:13], v26, v26, 1.0
	v_rcp_f32_e32 v29, v28
	v_div_scale_f32 v30, vcc, 1.0, v26, 1.0
	v_xor_b32_e32 v27, 0x80000000, v24
	v_fma_f32 v31, -v28, v29, 1.0
	v_fmac_f32_e32 v29, v31, v29
	v_mul_f32_e32 v31, v30, v29
	v_fma_f32 v32, -v28, v31, v30
	v_fmac_f32_e32 v31, v32, v29
	v_fma_f32 v28, -v28, v31, v30
	v_div_fmas_f32 v28, v28, v29, v31
	v_div_fixup_f32 v28, v28, v26, 1.0
	v_mov_b32_e32 v26, v25
	v_pk_mul_f32 v[26:27], v[8:9], v[26:27] op_sel:[1,0]
	s_nop 0
	v_pk_fma_f32 v[8:9], v[24:25], v[8:9], v[26:27] op_sel_hi:[1,0,1]
	s_nop 0
	v_pk_mul_f32 v[8:9], v[28:29], v[8:9] op_sel_hi:[0,1]
	s_and_saveexec_b64 s[12:13], s[4:5]
; %bb.31:                               ;   in Loop: Header=BB16_26 Depth=2
	ds_write_b64 v10, v[8:9] offset:72
; %bb.32:                               ;   in Loop: Header=BB16_26 Depth=2
	s_or_b64 exec, exec, s[12:13]
	v_add_u32_e32 v13, 2, v13
	v_cmp_gt_i32_e32 vcc, s31, v13
	s_and_saveexec_b64 s[12:13], vcc
	s_cbranch_execz .LBB16_25
; %bb.33:                               ;   in Loop: Header=BB16_26 Depth=2
	ds_read_b64 v[24:25], v12 offset:80
	ds_read_b64 v[26:27], v11 offset:72
	v_pk_add_f32 v[28:29], v[8:9], 0 neg_lo:[1,1] neg_hi:[1,1]
	s_waitcnt lgkmcnt(0)
	v_pk_fma_f32 v[26:27], v[8:9], v[24:25], v[26:27] op_sel_hi:[1,0,1] neg_lo:[1,0,0] neg_hi:[1,0,0]
	v_pk_mov_b32 v[8:9], v[8:9], v[28:29] op_sel:[1,0]
	s_nop 0
	v_pk_fma_f32 v[8:9], v[8:9], v[24:25], v[26:27] op_sel:[0,1,0]
	ds_write_b64 v11, v[8:9] offset:72
	s_branch .LBB16_25
.LBB16_34:                              ;   in Loop: Header=BB16_15 Depth=1
	s_andn2_b64 vcc, exec, s[46:47]
	s_cbranch_vccnz .LBB16_40
; %bb.35:                               ;   in Loop: Header=BB16_15 Depth=1
	s_mul_i32 s12, s51, 0x48
	s_lshl_b32 s13, s51, 3
	s_add_i32 s49, s12, s13
	v_mov_b32_e32 v8, s49
	ds_read_b64 v[8:9], v8
	v_add_u32_e32 v10, s12, v15
	ds_read_b64 v[12:13], v10
	s_waitcnt lgkmcnt(0)
	v_mul_f32_e32 v11, v9, v9
	v_fmac_f32_e32 v11, v8, v8
	v_div_scale_f32 v24, s[12:13], v11, v11, 1.0
	v_rcp_f32_e32 v25, v24
	v_div_scale_f32 v26, vcc, 1.0, v11, 1.0
	v_fma_f32 v27, -v24, v25, 1.0
	v_fmac_f32_e32 v25, v27, v25
	v_mul_f32_e32 v27, v26, v25
	v_fma_f32 v28, -v24, v27, v26
	v_fmac_f32_e32 v27, v28, v25
	v_fma_f32 v24, -v24, v27, v26
	v_div_fmas_f32 v24, v24, v25, v27
	v_xor_b32_e32 v27, 0x80000000, v12
	v_mov_b32_e32 v26, v13
	v_pk_mul_f32 v[26:27], v[8:9], v[26:27] op_sel:[1,0]
	v_div_fixup_f32 v24, v24, v11, 1.0
	v_pk_fma_f32 v[8:9], v[12:13], v[8:9], v[26:27] op_sel_hi:[1,0,1]
	s_nop 0
	v_pk_mul_f32 v[8:9], v[24:25], v[8:9] op_sel_hi:[0,1]
	s_and_saveexec_b64 s[12:13], s[4:5]
; %bb.36:                               ;   in Loop: Header=BB16_15 Depth=1
	ds_write_b64 v10, v[8:9]
; %bb.37:                               ;   in Loop: Header=BB16_15 Depth=1
	s_or_b64 exec, exec, s[12:13]
	v_add_u32_e32 v11, s51, v19
	v_cmp_gt_i32_e32 vcc, s31, v11
	s_and_saveexec_b64 s[12:13], vcc
	s_cbranch_execz .LBB16_39
; %bb.38:                               ;   in Loop: Header=BB16_15 Depth=1
	v_mov_b32_e32 v11, s49
	v_mad_u32_u24 v11, v1, s41, v11
	v_mad_u32_u24 v26, v1, s41, v10
	ds_read_b64 v[10:11], v11 offset:72
	ds_read_b64 v[12:13], v26 offset:72
	v_pk_add_f32 v[24:25], v[8:9], 0 neg_lo:[1,1] neg_hi:[1,1]
	s_waitcnt lgkmcnt(0)
	v_pk_fma_f32 v[12:13], v[8:9], v[10:11], v[12:13] op_sel_hi:[1,0,1] neg_lo:[1,0,0] neg_hi:[1,0,0]
	v_pk_mov_b32 v[8:9], v[8:9], v[24:25] op_sel:[1,0]
	s_nop 0
	v_pk_fma_f32 v[8:9], v[8:9], v[10:11], v[12:13] op_sel:[0,1,0]
	ds_write_b64 v26, v[8:9] offset:72
.LBB16_39:                              ;   in Loop: Header=BB16_15 Depth=1
	s_or_b64 exec, exec, s[12:13]
	s_waitcnt lgkmcnt(0)
.LBB16_40:                              ;   in Loop: Header=BB16_15 Depth=1
	s_and_saveexec_b64 s[12:13], s[2:3]
	s_cbranch_execz .LBB16_42
; %bb.41:                               ;   in Loop: Header=BB16_15 Depth=1
	s_mul_i32 s49, s44, s31
	ds_read_b64 v[8:9], v16
	v_add_u32_e32 v10, s49, v4
	v_mad_u64_u32 v[10:11], s[50:51], v10, s31, v[6:7]
	v_mov_b32_e32 v11, v22
	v_lshl_add_u64 v[10:11], v[10:11], 3, s[20:21]
	s_waitcnt lgkmcnt(0)
	global_store_dwordx2 v[10:11], v[8:9], off
.LBB16_42:                              ;   in Loop: Header=BB16_15 Depth=1
	s_or_b64 exec, exec, s[12:13]
	s_sub_i32 s58, s48, s34
	s_add_i32 s48, s45, 1
	s_cmp_ge_i32 s48, s58
	s_cbranch_scc1 .LBB16_14
; %bb.43:                               ;   in Loop: Header=BB16_15 Depth=1
	s_load_dword s12, s[0:1], 0xc
	s_waitcnt lgkmcnt(0)
	s_and_b32 s12, s12, 0xffff
	v_mad_u32_u24 v8, v1, s12, v18
	v_ashrrev_i32_e32 v9, 31, v8
	v_cmp_gt_i32_e64 s[12:13], s33, v8
	v_lshl_add_u64 v[10:11], v[8:9], 2, s[18:19]
	s_branch .LBB16_46
.LBB16_44:                              ;   in Loop: Header=BB16_46 Depth=2
	s_or_b64 exec, exec, s[50:51]
.LBB16_45:                              ;   in Loop: Header=BB16_46 Depth=2
	s_add_i32 s48, s48, 1
	s_cmp_lt_i32 s48, s58
	s_cbranch_scc0 .LBB16_14
.LBB16_46:                              ;   Parent Loop BB16_15 Depth=1
                                        ; =>  This Loop Header: Depth=2
                                        ;       Child Loop BB16_51 Depth 3
                                        ;       Child Loop BB16_59 Depth 3
	s_ashr_i32 s49, s48, 31
	s_lshl_b64 s[50:51], s[48:49], 2
	s_add_u32 s50, s18, s50
	s_addc_u32 s51, s19, s51
	global_load_dword v9, v22, s[50:51]
	v_mov_b32_e32 v13, s43
	s_and_saveexec_b64 s[50:51], s[12:13]
	s_cbranch_execz .LBB16_48
; %bb.47:                               ;   in Loop: Header=BB16_46 Depth=2
	global_load_dword v12, v[10:11], off
	s_waitcnt vmcnt(0)
	v_subrev_u32_e32 v13, s34, v12
.LBB16_48:                              ;   in Loop: Header=BB16_46 Depth=2
	s_or_b64 exec, exec, s[50:51]
	s_waitcnt vmcnt(0)
	v_subrev_u32_e32 v9, s34, v9
	v_cmp_lt_i32_e32 vcc, v13, v9
	v_mov_b32_e32 v24, v8
	s_and_saveexec_b64 s[50:51], vcc
	s_cbranch_execz .LBB16_54
; %bb.49:                               ;   in Loop: Header=BB16_46 Depth=2
	s_mov_b64 s[52:53], 0
	v_mov_b32_e32 v12, v8
	s_branch .LBB16_51
.LBB16_50:                              ;   in Loop: Header=BB16_51 Depth=3
	s_or_b64 exec, exec, s[54:55]
	v_cmp_ge_i32_e32 vcc, v13, v9
	s_or_b64 s[52:53], vcc, s[52:53]
	v_mov_b32_e32 v12, v24
	s_andn2_b64 exec, exec, s[52:53]
	s_cbranch_execz .LBB16_53
.LBB16_51:                              ;   Parent Loop BB16_15 Depth=1
                                        ;     Parent Loop BB16_46 Depth=2
                                        ; =>    This Inner Loop Header: Depth=3
	v_add_u32_e32 v24, 64, v12
	v_cmp_gt_i32_e32 vcc, s33, v24
	v_mov_b32_e32 v13, s43
	s_and_saveexec_b64 s[54:55], vcc
	s_cbranch_execz .LBB16_50
; %bb.52:                               ;   in Loop: Header=BB16_51 Depth=3
	v_ashrrev_i32_e32 v13, 31, v12
	v_lshl_add_u64 v[12:13], v[12:13], 2, s[18:19]
	global_load_dword v12, v[12:13], off offset:256
	s_waitcnt vmcnt(0)
	v_subrev_u32_e32 v13, s34, v12
	s_branch .LBB16_50
.LBB16_53:                              ;   in Loop: Header=BB16_46 Depth=2
	s_or_b64 exec, exec, s[52:53]
.LBB16_54:                              ;   in Loop: Header=BB16_46 Depth=2
	s_or_b64 exec, exec, s[50:51]
	v_cmp_eq_u32_e32 vcc, v13, v9
	s_cbranch_vccz .LBB16_45
; %bb.55:                               ;   in Loop: Header=BB16_46 Depth=2
	s_ff1_i32_b64 s45, vcc
	v_and_or_b32 v9, v23, 64, s45
	v_lshlrev_b32_e32 v9, 2, v9
	ds_bpermute_b32 v9, v9, v24
	v_mov_b32_e32 v13, 0
	v_mov_b32_e32 v24, 0
	;; [unrolled: 1-line block ×3, first 2 shown]
	s_and_saveexec_b64 s[50:51], s[2:3]
	s_cbranch_execz .LBB16_57
; %bb.56:                               ;   in Loop: Header=BB16_46 Depth=2
	s_mul_i32 s45, s48, s31
	v_add_u32_e32 v12, s45, v4
	v_mad_u64_u32 v[24:25], s[52:53], v12, s31, v[6:7]
	v_mov_b32_e32 v25, v22
	v_lshl_add_u64 v[24:25], v[24:25], 3, s[20:21]
	global_load_dwordx2 v[24:25], v[24:25], off
.LBB16_57:                              ;   in Loop: Header=BB16_46 Depth=2
	s_or_b64 exec, exec, s[50:51]
	s_and_b64 vcc, exec, s[6:7]
	v_mov_b32_e32 v12, 0
	s_waitcnt vmcnt(0)
	ds_write_b64 v17, v[24:25]
	s_waitcnt lgkmcnt(0)
	s_cbranch_vccnz .LBB16_60
; %bb.58:                               ;   in Loop: Header=BB16_46 Depth=2
	v_mov_b32_e32 v12, 0
	v_mov_b32_e32 v24, v15
	v_mov_b32_e32 v25, v5
	s_mov_b32 s45, s31
	v_mov_b32_e32 v13, v12
.LBB16_59:                              ;   Parent Loop BB16_15 Depth=1
                                        ;     Parent Loop BB16_46 Depth=2
                                        ; =>    This Inner Loop Header: Depth=3
	ds_read_b64 v[26:27], v25
	ds_read_b64 v[28:29], v24
	s_add_i32 s45, s45, -1
	v_add_u32_e32 v25, 8, v25
	v_add_u32_e32 v24, 0x48, v24
	s_cmp_eq_u32 s45, 0
	s_waitcnt lgkmcnt(0)
	v_xor_b32_e32 v30, 0x80000000, v29
	v_pk_fma_f32 v[12:13], v[28:29], v[26:27], v[12:13] op_sel_hi:[1,0,1]
	v_mov_b32_e32 v31, v28
	v_pk_fma_f32 v[12:13], v[30:31], v[26:27], v[12:13] op_sel:[0,1,0]
	s_cbranch_scc0 .LBB16_59
.LBB16_60:                              ;   in Loop: Header=BB16_46 Depth=2
	s_and_saveexec_b64 s[50:51], s[2:3]
	s_cbranch_execz .LBB16_44
; %bb.61:                               ;   in Loop: Header=BB16_46 Depth=2
	v_mad_u64_u32 v[24:25], s[52:53], v9, s31, v[4:5]
	v_mad_u64_u32 v[24:25], s[52:53], v24, s31, v[6:7]
	v_mov_b32_e32 v25, v22
	v_lshl_add_u64 v[24:25], v[24:25], 3, s[20:21]
	global_load_dwordx2 v[26:27], v[24:25], off
	s_waitcnt vmcnt(0)
	v_pk_add_f32 v[12:13], v[26:27], v[12:13] neg_lo:[0,1] neg_hi:[0,1]
	global_store_dwordx2 v[24:25], v[12:13], off
	s_branch .LBB16_44
.LBB16_62:
	s_ashr_i32 s41, s40, 31
	s_lshl_b64 s[0:1], s[40:41], 2
	s_add_u32 s0, s18, s0
	s_addc_u32 s1, s19, s1
	v_mov_b32_e32 v4, 0
	global_load_dword v5, v4, s[0:1]
	s_waitcnt vmcnt(0)
	v_subrev_u32_e32 v5, s34, v5
	v_cmp_ne_u32_e32 vcc, s30, v5
	s_cbranch_vccnz .LBB16_94
; %bb.63:
	v_and_b32_e32 v8, 0x3ff, v0
	v_max_u32_e32 v5, v8, v1
	v_cmp_gt_u32_e64 s[2:3], s31, v5
	v_mov_b32_e32 v5, 0
	s_and_saveexec_b64 s[0:1], s[2:3]
	s_cbranch_execz .LBB16_65
; %bb.64:
	s_cmp_eq_u32 s42, 0
	s_cselect_b64 vcc, -1, 0
	s_mul_i32 s4, s40, s31
	v_cndmask_b32_e32 v5, v1, v8, vcc
	v_cndmask_b32_e32 v4, v8, v1, vcc
	v_add_u32_e32 v5, s4, v5
	v_mad_u64_u32 v[4:5], s[4:5], v5, s31, v[4:5]
	v_mov_b32_e32 v5, 0
	v_lshl_add_u64 v[4:5], v[4:5], 3, s[20:21]
	global_load_dwordx2 v[4:5], v[4:5], off
.LBB16_65:
	s_or_b64 exec, exec, s[0:1]
	v_lshlrev_b32_e32 v6, 3, v8
	s_movk_i32 s0, 0x48
	v_mad_u32_u24 v9, v1, s0, v6
	s_cmp_lt_i32 s31, 1
	s_waitcnt vmcnt(0)
	ds_write_b64 v9, v[4:5]
	s_waitcnt lgkmcnt(0)
	s_cbranch_scc1 .LBB16_91
; %bb.66:
	s_cmp_eq_u64 s[24:25], 8
	v_cvt_f64_f32_e32 v[4:5], v7
	s_cselect_b64 vcc, -1, 0
	v_cndmask_b32_e32 v2, v4, v2, vcc
	v_or_b32_e32 v4, v8, v1
	v_cmp_eq_u32_e64 s[4:5], 0, v4
	v_mul_u32_u24_e32 v4, 0x48, v1
	s_movk_i32 s1, 0x50
	v_cndmask_b32_e32 v3, v5, v3, vcc
	s_mov_b32 s12, 0
	v_cmp_eq_u32_e64 s[6:7], 0, v1
	v_add3_u32 v10, v4, v6, s1
	v_mad_u32_u24 v11, v1, s0, s0
	v_add_u32_e32 v12, 1, v8
	v_add_u32_e32 v13, 8, v6
	s_mov_b32 s13, 0xf800000
	v_mov_b32_e32 v15, 0x260
	v_mov_b32_e32 v16, v14
	s_mov_b32 s16, s31
	s_mov_b32 s17, 0
.LBB16_67:                              ; =>This Inner Loop Header: Depth=1
	s_waitcnt lgkmcnt(0)
	v_mov_b32_e32 v4, s12
	ds_read_b64 v[4:5], v4
	s_mov_b64 s[10:11], -1
	s_mov_b64 s[8:9], 0
	s_and_b64 vcc, exec, s[14:15]
	s_mov_b64 s[0:1], 0
                                        ; implicit-def: $vgpr6_vgpr7
	s_cbranch_vccz .LBB16_74
; %bb.68:                               ;   in Loop: Header=BB16_67 Depth=1
	s_and_b64 vcc, exec, s[10:11]
	s_cbranch_vccnz .LBB16_82
.LBB16_69:                              ;   in Loop: Header=BB16_67 Depth=1
	s_andn2_b64 vcc, exec, s[0:1]
                                        ; implicit-def: $sgpr0
	s_cbranch_vccz .LBB16_83
.LBB16_70:                              ;   in Loop: Header=BB16_67 Depth=1
	s_andn2_b64 vcc, exec, s[8:9]
	s_cbranch_vccnz .LBB16_72
.LBB16_71:                              ;   in Loop: Header=BB16_67 Depth=1
	s_add_i32 s0, s17, 1
	s_mov_b64 s[38:39], -1
.LBB16_72:                              ;   in Loop: Header=BB16_67 Depth=1
	s_add_i32 s16, s16, -1
	s_addk_i32 s12, 0x50
	v_add_u32_e32 v10, 0x50, v10
	v_add_u32_e32 v11, 0x50, v11
	;; [unrolled: 1-line block ×4, first 2 shown]
	s_cmp_eq_u32 s16, 0
	v_add_u32_e32 v13, 0x50, v13
	s_cbranch_scc1 .LBB16_91
; %bb.73:                               ;   in Loop: Header=BB16_67 Depth=1
	s_mov_b32 s17, s0
	s_branch .LBB16_67
.LBB16_74:                              ;   in Loop: Header=BB16_67 Depth=1
	s_waitcnt lgkmcnt(0)
	v_cmp_gt_f32_e32 vcc, 0, v4
	s_nop 1
	v_cndmask_b32_e64 v6, v4, -v4, vcc
	v_cmp_gt_f32_e32 vcc, 0, v5
	s_nop 1
	v_cndmask_b32_e64 v7, v5, -v5, vcc
	v_cmp_ngt_f32_e32 vcc, v6, v7
	s_cbranch_vccz .LBB16_77
; %bb.75:                               ;   in Loop: Header=BB16_67 Depth=1
	v_cmp_eq_f32_e32 vcc, 0, v5
	s_cbranch_vccnz .LBB16_89
; %bb.76:                               ;   in Loop: Header=BB16_67 Depth=1
	v_div_scale_f32 v17, s[0:1], v7, v7, v6
	v_rcp_f32_e32 v18, v17
	v_div_scale_f32 v19, vcc, v6, v7, v6
	v_fma_f32 v20, -v17, v18, 1.0
	v_fmac_f32_e32 v18, v20, v18
	v_mul_f32_e32 v20, v19, v18
	v_fma_f32 v21, -v17, v20, v19
	v_fmac_f32_e32 v20, v21, v18
	v_fma_f32 v17, -v17, v20, v19
	v_div_fmas_f32 v17, v17, v18, v20
	v_div_fixup_f32 v17, v17, v7, v6
	v_fma_f32 v17, v17, v17, 1.0
	v_mul_f32_e32 v18, 0x4f800000, v17
	v_cmp_gt_f32_e32 vcc, s13, v17
	s_nop 1
	v_cndmask_b32_e32 v17, v17, v18, vcc
	v_sqrt_f32_e32 v18, v17
	s_nop 0
	v_add_u32_e32 v19, -1, v18
	v_fma_f32 v20, -v19, v18, v17
	v_cmp_ge_f32_e64 s[0:1], 0, v20
	v_add_u32_e32 v20, 1, v18
	s_nop 0
	v_cndmask_b32_e64 v19, v18, v19, s[0:1]
	v_fma_f32 v18, -v20, v18, v17
	v_cmp_lt_f32_e64 s[0:1], 0, v18
	s_nop 1
	v_cndmask_b32_e64 v18, v19, v20, s[0:1]
	v_mul_f32_e32 v19, 0x37800000, v18
	v_cndmask_b32_e32 v18, v18, v19, vcc
	v_cmp_class_f32_e32 vcc, v17, v15
	s_nop 1
	v_cndmask_b32_e32 v17, v18, v17, vcc
	v_mul_f32_e32 v17, v7, v17
	s_cbranch_execz .LBB16_78
	s_branch .LBB16_79
.LBB16_77:                              ;   in Loop: Header=BB16_67 Depth=1
                                        ; implicit-def: $vgpr17
.LBB16_78:                              ;   in Loop: Header=BB16_67 Depth=1
	v_div_scale_f32 v17, s[0:1], v6, v6, v7
	v_rcp_f32_e32 v18, v17
	v_div_scale_f32 v19, vcc, v7, v6, v7
	v_fma_f32 v20, -v17, v18, 1.0
	v_fmac_f32_e32 v18, v20, v18
	v_mul_f32_e32 v20, v19, v18
	v_fma_f32 v21, -v17, v20, v19
	v_fmac_f32_e32 v20, v21, v18
	v_fma_f32 v17, -v17, v20, v19
	v_div_fmas_f32 v17, v17, v18, v20
	v_div_fixup_f32 v7, v17, v6, v7
	v_fma_f32 v7, v7, v7, 1.0
	v_mul_f32_e32 v17, 0x4f800000, v7
	v_cmp_gt_f32_e32 vcc, s13, v7
	s_nop 1
	v_cndmask_b32_e32 v7, v7, v17, vcc
	v_sqrt_f32_e32 v17, v7
	s_nop 0
	v_add_u32_e32 v18, -1, v17
	v_fma_f32 v19, -v18, v17, v7
	v_cmp_ge_f32_e64 s[0:1], 0, v19
	v_add_u32_e32 v19, 1, v17
	s_nop 0
	v_cndmask_b32_e64 v18, v17, v18, s[0:1]
	v_fma_f32 v17, -v19, v17, v7
	v_cmp_lt_f32_e64 s[0:1], 0, v17
	s_nop 1
	v_cndmask_b32_e64 v17, v18, v19, s[0:1]
	v_mul_f32_e32 v18, 0x37800000, v17
	v_cndmask_b32_e32 v17, v17, v18, vcc
	v_cmp_class_f32_e32 vcc, v7, v15
	s_nop 1
	v_cndmask_b32_e32 v7, v17, v7, vcc
	v_mul_f32_e32 v17, v6, v7
.LBB16_79:                              ;   in Loop: Header=BB16_67 Depth=1
	v_cvt_f64_f32_e32 v[6:7], v17
	v_mov_b32_e32 v17, s56
	v_cmp_ge_f64_e32 vcc, v[2:3], v[6:7]
	v_mov_b32_e32 v7, s35
	s_nop 0
	v_cndmask_b32_e32 v6, v5, v17, vcc
	v_cndmask_b32_e32 v7, v4, v7, vcc
	s_and_saveexec_b64 s[0:1], s[4:5]
; %bb.80:                               ;   in Loop: Header=BB16_67 Depth=1
	v_mov_b32_e32 v18, v7
	v_mov_b32_e32 v19, v6
	;; [unrolled: 1-line block ×3, first 2 shown]
	ds_write_b64 v17, v[18:19]
; %bb.81:                               ;   in Loop: Header=BB16_67 Depth=1
	s_or_b64 exec, exec, s[0:1]
	s_mov_b64 s[0:1], -1
	s_branch .LBB16_69
.LBB16_82:                              ;   in Loop: Header=BB16_67 Depth=1
	s_waitcnt lgkmcnt(0)
	v_mov_b32_e32 v7, v4
	v_or_b32_e32 v4, v4, v5
	v_and_b32_e32 v4, 0x7fffffff, v4
	v_mov_b32_e32 v6, v5
	v_cmp_ne_u32_e64 s[0:1], 0, v4
	s_mov_b64 s[8:9], -1
	s_andn2_b64 vcc, exec, s[0:1]
                                        ; implicit-def: $sgpr0
	s_cbranch_vccnz .LBB16_70
.LBB16_83:                              ;   in Loop: Header=BB16_67 Depth=1
	v_cmp_gt_i32_e32 vcc, s31, v12
	s_and_saveexec_b64 s[0:1], vcc
	s_cbranch_execz .LBB16_88
; %bb.84:                               ;   in Loop: Header=BB16_67 Depth=1
	v_mul_f32_e32 v17, v6, v6
	v_fmac_f32_e32 v17, v7, v7
	v_div_scale_f32 v18, s[8:9], v17, v17, 1.0
	v_rcp_f32_e32 v19, v18
	v_div_scale_f32 v20, vcc, 1.0, v17, 1.0
	s_waitcnt lgkmcnt(0)
	v_fma_f32 v4, -v18, v19, 1.0
	v_fmac_f32_e32 v19, v4, v19
	v_mul_f32_e32 v21, v20, v19
	v_fma_f32 v4, -v18, v21, v20
	v_fmac_f32_e32 v21, v4, v19
	ds_read_b64 v[4:5], v13
	v_fma_f32 v18, -v18, v21, v20
	v_div_fmas_f32 v18, v18, v19, v21
	v_div_fixup_f32 v18, v18, v17, 1.0
	s_waitcnt lgkmcnt(0)
	v_xor_b32_e32 v21, 0x80000000, v4
	v_mov_b32_e32 v20, v5
	v_pk_mul_f32 v[20:21], v[6:7], v[20:21] op_sel_hi:[0,1]
	v_pk_fma_f32 v[4:5], v[4:5], v[6:7], v[20:21] op_sel:[0,1,0]
	s_nop 0
	v_pk_mul_f32 v[4:5], v[18:19], v[4:5] op_sel_hi:[0,1]
	s_and_saveexec_b64 s[8:9], s[6:7]
; %bb.85:                               ;   in Loop: Header=BB16_67 Depth=1
	ds_write_b64 v13, v[4:5]
; %bb.86:                               ;   in Loop: Header=BB16_67 Depth=1
	s_or_b64 exec, exec, s[8:9]
	v_cmp_gt_i32_e32 vcc, s31, v16
	s_and_b64 exec, exec, vcc
	s_cbranch_execz .LBB16_88
; %bb.87:                               ;   in Loop: Header=BB16_67 Depth=1
	ds_read_b64 v[6:7], v11
	ds_read_b64 v[18:19], v10
	v_pk_add_f32 v[20:21], v[4:5], 0 neg_lo:[1,1] neg_hi:[1,1]
	s_waitcnt lgkmcnt(0)
	v_pk_fma_f32 v[18:19], v[4:5], v[6:7], v[18:19] op_sel_hi:[1,0,1] neg_lo:[1,0,0] neg_hi:[1,0,0]
	v_pk_mov_b32 v[4:5], v[4:5], v[20:21] op_sel:[1,0]
	s_nop 0
	v_pk_fma_f32 v[4:5], v[4:5], v[6:7], v[18:19] op_sel:[0,1,0]
	ds_write_b64 v10, v[4:5]
.LBB16_88:                              ;   in Loop: Header=BB16_67 Depth=1
	s_or_b64 exec, exec, s[0:1]
	s_add_i32 s0, s17, 1
	s_cbranch_execz .LBB16_71
	s_branch .LBB16_72
.LBB16_89:                              ;   in Loop: Header=BB16_67 Depth=1
	v_mov_b32_e32 v17, 0
	s_cbranch_execz .LBB16_78
	s_branch .LBB16_79
.LBB16_90:
	s_mov_b64 s[38:39], -1
	s_branch .LBB16_118
.LBB16_91:
	s_waitcnt lgkmcnt(0)
	s_and_saveexec_b64 s[0:1], s[2:3]
	s_cbranch_execz .LBB16_93
; %bb.92:
	s_cmp_eq_u32 s42, 0
	s_cselect_b64 vcc, -1, 0
	s_mul_i32 s2, s40, s31
	v_cndmask_b32_e32 v3, v1, v8, vcc
	ds_read_b64 v[4:5], v9
	v_cndmask_b32_e32 v2, v8, v1, vcc
	v_add_u32_e32 v3, s2, v3
	v_mad_u64_u32 v[2:3], s[2:3], v3, s31, v[2:3]
	v_mov_b32_e32 v3, 0
	v_lshl_add_u64 v[2:3], v[2:3], 3, s[20:21]
	s_waitcnt lgkmcnt(0)
	global_store_dwordx2 v[2:3], v[4:5], off
.LBB16_93:
	s_or_b64 exec, exec, s[0:1]
.LBB16_94:
	s_add_i32 s10, s40, 1
	s_cmp_ge_i32 s10, s33
	s_cbranch_scc1 .LBB16_118
; %bb.95:
	s_cmp_eq_u32 s42, 0
	s_cselect_b64 vcc, -1, 0
	s_cmp_gt_i32 s31, 0
	v_and_b32_e32 v6, 0x3ff, v0
	s_cselect_b64 s[2:3], -1, 0
	s_add_i32 s4, s31, -1
	s_and_b32 s11, s31, 3
	v_mul_u32_u24_e32 v2, 0x48, v1
	v_lshlrev_b32_e32 v3, 3, v6
	s_movk_i32 s0, 0x240
	s_cmp_gt_u32 s4, 2
	s_movk_i32 s6, 0x48
	v_add3_u32 v3, v2, v3, s0
	v_max_u32_e32 v2, v6, v1
	s_cselect_b64 s[4:5], -1, 0
	s_and_b32 s12, s31, 0x7ffffffc
	v_mov_b32_e32 v7, 0x240
	v_cmp_gt_u32_e64 s[0:1], s31, v2
	v_cndmask_b32_e32 v4, v1, v6, vcc
	v_cndmask_b32_e32 v2, v6, v1, vcc
	s_cmp_lg_u32 s11, 0
	v_lshlrev_b32_e32 v5, 3, v1
	v_mul_u32_u24_e32 v8, 0x48, v6
	v_mad_u32_u24 v6, v6, s6, v7
	s_movk_i32 s6, 0x248
	v_cndmask_b32_e64 v10, 0, 1, s[2:3]
	v_add3_u32 v8, v8, v5, s6
	v_cmp_ne_u32_e64 s[2:3], 1, v10
	v_cndmask_b32_e64 v10, 0, 1, s[4:5]
	s_cselect_b64 s[6:7], -1, 0
	v_cmp_ne_u32_e64 s[4:5], 1, v10
	v_cndmask_b32_e64 v10, 0, 1, s[6:7]
	v_add_u32_e32 v7, 8, v5
	v_mov_b32_e32 v9, 0
	v_cmp_ne_u32_e64 s[6:7], 1, v10
	s_branch .LBB16_97
.LBB16_96:                              ;   in Loop: Header=BB16_97 Depth=1
	s_or_b64 exec, exec, s[8:9]
	s_add_i32 s10, s10, 1
	s_cmp_lt_i32 s10, s33
	s_cbranch_scc0 .LBB16_118
.LBB16_97:                              ; =>This Loop Header: Depth=1
                                        ;     Child Loop BB16_103 Depth 2
                                        ;     Child Loop BB16_114 Depth 2
	s_mul_i32 s8, s10, s31
	v_add_u32_e32 v10, s8, v4
	v_mov_b32_e32 v12, 0
	v_mov_b32_e32 v13, 0
	s_waitcnt lgkmcnt(0)
	s_and_saveexec_b64 s[8:9], s[0:1]
	s_cbranch_execz .LBB16_99
; %bb.98:                               ;   in Loop: Header=BB16_97 Depth=1
	v_mad_u64_u32 v[12:13], s[14:15], v10, s31, v[2:3]
	v_mov_b32_e32 v13, v9
	v_lshl_add_u64 v[12:13], v[12:13], 3, s[20:21]
	global_load_dwordx2 v[12:13], v[12:13], off
.LBB16_99:                              ;   in Loop: Header=BB16_97 Depth=1
	s_or_b64 exec, exec, s[8:9]
	s_and_b64 vcc, exec, s[2:3]
	s_waitcnt vmcnt(0)
	ds_write_b64 v3, v[12:13]
	s_waitcnt lgkmcnt(0)
	s_cbranch_vccnz .LBB16_116
; %bb.100:                              ;   in Loop: Header=BB16_97 Depth=1
	s_and_b64 vcc, exec, s[4:5]
	s_mov_b32 s8, 0
	s_cbranch_vccnz .LBB16_111
; %bb.101:                              ;   in Loop: Header=BB16_97 Depth=1
	s_mov_b32 s13, 0
	s_mov_b32 s14, 8
	v_mov_b32_e32 v11, v6
	s_branch .LBB16_103
.LBB16_102:                             ;   in Loop: Header=BB16_103 Depth=2
	s_or_b64 exec, exec, s[8:9]
	s_add_i32 s13, s13, 4
	s_addk_i32 s14, 0x140
	v_add_u32_e32 v11, 32, v11
	s_cmp_eq_u32 s12, s13
	s_mov_b32 s8, s12
	s_cbranch_scc1 .LBB16_111
.LBB16_103:                             ;   Parent Loop BB16_97 Depth=1
                                        ; =>  This Inner Loop Header: Depth=2
	v_add_u32_e32 v15, s13, v1
	v_add_u32_e32 v12, 1, v15
	v_cmp_gt_i32_e32 vcc, s31, v12
	v_add_u32_e32 v13, s14, v5
	v_add_u32_e32 v12, v11, v5
	s_and_saveexec_b64 s[8:9], vcc
	s_cbranch_execz .LBB16_105
; %bb.104:                              ;   in Loop: Header=BB16_103 Depth=2
	ds_read_b64 v[16:17], v13
	ds_read_b64 v[18:19], v11
	ds_read_b64 v[20:21], v12 offset:8
	s_waitcnt lgkmcnt(2)
	v_pk_add_f32 v[22:23], v[16:17], 0 neg_lo:[1,1] neg_hi:[1,1]
	s_waitcnt lgkmcnt(0)
	v_pk_fma_f32 v[20:21], v[16:17], v[18:19], v[20:21] op_sel_hi:[1,0,1] neg_lo:[1,0,0] neg_hi:[1,0,0]
	v_pk_mov_b32 v[16:17], v[16:17], v[22:23] op_sel:[1,0]
	s_nop 0
	v_pk_fma_f32 v[16:17], v[16:17], v[18:19], v[20:21] op_sel:[0,1,0]
	ds_write_b64 v12, v[16:17] offset:8
.LBB16_105:                             ;   in Loop: Header=BB16_103 Depth=2
	s_or_b64 exec, exec, s[8:9]
	v_add_u32_e32 v16, 2, v15
	v_cmp_gt_i32_e32 vcc, s31, v16
	s_and_saveexec_b64 s[8:9], vcc
	s_cbranch_execz .LBB16_107
; %bb.106:                              ;   in Loop: Header=BB16_103 Depth=2
	ds_read_b64 v[16:17], v13 offset:80
	ds_read_b64 v[18:19], v11 offset:8
	;; [unrolled: 1-line block ×3, first 2 shown]
	s_waitcnt lgkmcnt(2)
	v_pk_add_f32 v[22:23], v[16:17], 0 neg_lo:[1,1] neg_hi:[1,1]
	s_waitcnt lgkmcnt(0)
	v_pk_fma_f32 v[20:21], v[16:17], v[18:19], v[20:21] op_sel_hi:[1,0,1] neg_lo:[1,0,0] neg_hi:[1,0,0]
	v_pk_mov_b32 v[16:17], v[16:17], v[22:23] op_sel:[1,0]
	s_nop 0
	v_pk_fma_f32 v[16:17], v[16:17], v[18:19], v[20:21] op_sel:[0,1,0]
	ds_write_b64 v12, v[16:17] offset:16
.LBB16_107:                             ;   in Loop: Header=BB16_103 Depth=2
	s_or_b64 exec, exec, s[8:9]
	v_add_u32_e32 v16, 3, v15
	v_cmp_gt_i32_e32 vcc, s31, v16
	s_and_saveexec_b64 s[8:9], vcc
	s_cbranch_execz .LBB16_109
; %bb.108:                              ;   in Loop: Header=BB16_103 Depth=2
	ds_read_b64 v[16:17], v13 offset:160
	ds_read_b64 v[18:19], v11 offset:16
	;; [unrolled: 1-line block ×3, first 2 shown]
	s_waitcnt lgkmcnt(2)
	v_pk_add_f32 v[22:23], v[16:17], 0 neg_lo:[1,1] neg_hi:[1,1]
	s_waitcnt lgkmcnt(0)
	v_pk_fma_f32 v[20:21], v[16:17], v[18:19], v[20:21] op_sel_hi:[1,0,1] neg_lo:[1,0,0] neg_hi:[1,0,0]
	v_pk_mov_b32 v[16:17], v[16:17], v[22:23] op_sel:[1,0]
	s_nop 0
	v_pk_fma_f32 v[16:17], v[16:17], v[18:19], v[20:21] op_sel:[0,1,0]
	ds_write_b64 v12, v[16:17] offset:24
.LBB16_109:                             ;   in Loop: Header=BB16_103 Depth=2
	s_or_b64 exec, exec, s[8:9]
	v_add_u32_e32 v15, 4, v15
	v_cmp_gt_i32_e32 vcc, s31, v15
	s_and_saveexec_b64 s[8:9], vcc
	s_cbranch_execz .LBB16_102
; %bb.110:                              ;   in Loop: Header=BB16_103 Depth=2
	ds_read_b64 v[16:17], v13 offset:240
	ds_read_b64 v[18:19], v11 offset:24
	;; [unrolled: 1-line block ×3, first 2 shown]
	s_waitcnt lgkmcnt(2)
	v_pk_add_f32 v[22:23], v[16:17], 0 neg_lo:[1,1] neg_hi:[1,1]
	s_waitcnt lgkmcnt(0)
	v_pk_fma_f32 v[20:21], v[16:17], v[18:19], v[20:21] op_sel_hi:[1,0,1] neg_lo:[1,0,0] neg_hi:[1,0,0]
	v_pk_mov_b32 v[16:17], v[16:17], v[22:23] op_sel:[1,0]
	s_nop 0
	v_pk_fma_f32 v[16:17], v[16:17], v[18:19], v[20:21] op_sel:[0,1,0]
	ds_write_b64 v12, v[16:17] offset:32
	s_branch .LBB16_102
.LBB16_111:                             ;   in Loop: Header=BB16_97 Depth=1
	s_and_b64 vcc, exec, s[6:7]
	s_cbranch_vccnz .LBB16_116
; %bb.112:                              ;   in Loop: Header=BB16_97 Depth=1
	s_mul_i32 s9, s8, 0x50
	v_add_u32_e32 v11, s9, v7
	s_lshl_b32 s9, s8, 3
	v_add_u32_e32 v12, s9, v8
	v_add_u32_e32 v13, s9, v6
	;; [unrolled: 1-line block ×3, first 2 shown]
	s_mov_b32 s13, s11
	s_branch .LBB16_114
.LBB16_113:                             ;   in Loop: Header=BB16_114 Depth=2
	s_or_b64 exec, exec, s[8:9]
	s_add_i32 s13, s13, -1
	v_add_u32_e32 v11, 0x50, v11
	v_add_u32_e32 v12, 8, v12
	;; [unrolled: 1-line block ×3, first 2 shown]
	s_cmp_lg_u32 s13, 0
	v_add_u32_e32 v15, 1, v15
	s_cbranch_scc0 .LBB16_116
.LBB16_114:                             ;   Parent Loop BB16_97 Depth=1
                                        ; =>  This Inner Loop Header: Depth=2
	v_cmp_gt_i32_e32 vcc, s31, v15
	s_and_saveexec_b64 s[8:9], vcc
	s_cbranch_execz .LBB16_113
; %bb.115:                              ;   in Loop: Header=BB16_114 Depth=2
	ds_read_b64 v[16:17], v13
	ds_read_b64 v[18:19], v11
	;; [unrolled: 1-line block ×3, first 2 shown]
	s_waitcnt lgkmcnt(1)
	v_pk_add_f32 v[22:23], v[18:19], 0 neg_lo:[1,1] neg_hi:[1,1]
	s_waitcnt lgkmcnt(0)
	v_pk_fma_f32 v[20:21], v[18:19], v[16:17], v[20:21] op_sel_hi:[1,0,1] neg_lo:[1,0,0] neg_hi:[1,0,0]
	v_pk_mov_b32 v[18:19], v[18:19], v[22:23] op_sel:[1,0]
	s_nop 0
	v_pk_fma_f32 v[16:17], v[18:19], v[16:17], v[20:21] op_sel:[0,1,0]
	ds_write_b64 v12, v[16:17]
	s_branch .LBB16_113
.LBB16_116:                             ;   in Loop: Header=BB16_97 Depth=1
	s_waitcnt lgkmcnt(0)
	s_and_saveexec_b64 s[8:9], s[0:1]
	s_cbranch_execz .LBB16_96
; %bb.117:                              ;   in Loop: Header=BB16_97 Depth=1
	ds_read_b64 v[12:13], v3
	v_mad_u64_u32 v[10:11], s[14:15], v10, s31, v[2:3]
	v_mov_b32_e32 v11, v9
	v_lshl_add_u64 v[10:11], v[10:11], 3, s[20:21]
	s_waitcnt lgkmcnt(0)
	global_store_dwordx2 v[10:11], v[12:13], off
	s_branch .LBB16_96
.LBB16_118:
	v_and_b32_e32 v0, 0xfffff, v0
	v_cmp_eq_u32_e32 vcc, 0, v0
	s_and_saveexec_b64 s[0:1], vcc
	s_cbranch_execz .LBB16_122
; %bb.119:
	s_add_u32 s0, s28, s36
	s_addc_u32 s1, s29, s37
	v_mov_b32_e32 v0, 0
	v_mov_b32_e32 v1, 1
	s_andn2_b64 vcc, exec, s[38:39]
	buffer_wbl2 sc1
	s_waitcnt vmcnt(0) lgkmcnt(0)
	global_store_dword v0, v1, s[0:1] sc1
	s_cbranch_vccnz .LBB16_122
; %bb.120:
	v_mbcnt_lo_u32_b32 v0, exec_lo, 0
	v_mbcnt_hi_u32_b32 v0, exec_hi, v0
	v_cmp_eq_u32_e32 vcc, 0, v0
	s_and_b64 exec, exec, vcc
	s_cbranch_execz .LBB16_122
; %bb.121:
	s_add_i32 s0, s30, s34
	v_mov_b32_e32 v0, 0
	v_mov_b32_e32 v1, s0
	global_atomic_smin v0, v1, s[26:27]
.LBB16_122:
	s_endpgm
	.section	.rodata,"a",@progbits
	.p2align	6, 0x0
	.amdhsa_kernel _ZN9rocsparseL11bsrilu0_2_8ILj64ELj64ELj8E21rocsparse_complex_numIfEEEv20rocsparse_direction_iPKiS5_PT2_S5_iPiS5_S8_21rocsparse_index_base_imNS_24const_host_device_scalarIfEENSA_IdEENSA_IS6_EEb
		.amdhsa_group_segment_fixed_size 1152
		.amdhsa_private_segment_fixed_size 0
		.amdhsa_kernarg_size 376
		.amdhsa_user_sgpr_count 2
		.amdhsa_user_sgpr_dispatch_ptr 0
		.amdhsa_user_sgpr_queue_ptr 0
		.amdhsa_user_sgpr_kernarg_segment_ptr 1
		.amdhsa_user_sgpr_dispatch_id 0
		.amdhsa_user_sgpr_kernarg_preload_length 0
		.amdhsa_user_sgpr_kernarg_preload_offset 0
		.amdhsa_user_sgpr_private_segment_size 0
		.amdhsa_uses_dynamic_stack 0
		.amdhsa_enable_private_segment 0
		.amdhsa_system_sgpr_workgroup_id_x 1
		.amdhsa_system_sgpr_workgroup_id_y 0
		.amdhsa_system_sgpr_workgroup_id_z 0
		.amdhsa_system_sgpr_workgroup_info 0
		.amdhsa_system_vgpr_workitem_id 1
		.amdhsa_next_free_vgpr 33
		.amdhsa_next_free_sgpr 59
		.amdhsa_accum_offset 36
		.amdhsa_reserve_vcc 1
		.amdhsa_float_round_mode_32 0
		.amdhsa_float_round_mode_16_64 0
		.amdhsa_float_denorm_mode_32 3
		.amdhsa_float_denorm_mode_16_64 3
		.amdhsa_dx10_clamp 1
		.amdhsa_ieee_mode 1
		.amdhsa_fp16_overflow 0
		.amdhsa_tg_split 0
		.amdhsa_exception_fp_ieee_invalid_op 0
		.amdhsa_exception_fp_denorm_src 0
		.amdhsa_exception_fp_ieee_div_zero 0
		.amdhsa_exception_fp_ieee_overflow 0
		.amdhsa_exception_fp_ieee_underflow 0
		.amdhsa_exception_fp_ieee_inexact 0
		.amdhsa_exception_int_div_zero 0
	.end_amdhsa_kernel
	.section	.text._ZN9rocsparseL11bsrilu0_2_8ILj64ELj64ELj8E21rocsparse_complex_numIfEEEv20rocsparse_direction_iPKiS5_PT2_S5_iPiS5_S8_21rocsparse_index_base_imNS_24const_host_device_scalarIfEENSA_IdEENSA_IS6_EEb,"axG",@progbits,_ZN9rocsparseL11bsrilu0_2_8ILj64ELj64ELj8E21rocsparse_complex_numIfEEEv20rocsparse_direction_iPKiS5_PT2_S5_iPiS5_S8_21rocsparse_index_base_imNS_24const_host_device_scalarIfEENSA_IdEENSA_IS6_EEb,comdat
.Lfunc_end16:
	.size	_ZN9rocsparseL11bsrilu0_2_8ILj64ELj64ELj8E21rocsparse_complex_numIfEEEv20rocsparse_direction_iPKiS5_PT2_S5_iPiS5_S8_21rocsparse_index_base_imNS_24const_host_device_scalarIfEENSA_IdEENSA_IS6_EEb, .Lfunc_end16-_ZN9rocsparseL11bsrilu0_2_8ILj64ELj64ELj8E21rocsparse_complex_numIfEEEv20rocsparse_direction_iPKiS5_PT2_S5_iPiS5_S8_21rocsparse_index_base_imNS_24const_host_device_scalarIfEENSA_IdEENSA_IS6_EEb
                                        ; -- End function
	.set _ZN9rocsparseL11bsrilu0_2_8ILj64ELj64ELj8E21rocsparse_complex_numIfEEEv20rocsparse_direction_iPKiS5_PT2_S5_iPiS5_S8_21rocsparse_index_base_imNS_24const_host_device_scalarIfEENSA_IdEENSA_IS6_EEb.num_vgpr, 33
	.set _ZN9rocsparseL11bsrilu0_2_8ILj64ELj64ELj8E21rocsparse_complex_numIfEEEv20rocsparse_direction_iPKiS5_PT2_S5_iPiS5_S8_21rocsparse_index_base_imNS_24const_host_device_scalarIfEENSA_IdEENSA_IS6_EEb.num_agpr, 0
	.set _ZN9rocsparseL11bsrilu0_2_8ILj64ELj64ELj8E21rocsparse_complex_numIfEEEv20rocsparse_direction_iPKiS5_PT2_S5_iPiS5_S8_21rocsparse_index_base_imNS_24const_host_device_scalarIfEENSA_IdEENSA_IS6_EEb.numbered_sgpr, 59
	.set _ZN9rocsparseL11bsrilu0_2_8ILj64ELj64ELj8E21rocsparse_complex_numIfEEEv20rocsparse_direction_iPKiS5_PT2_S5_iPiS5_S8_21rocsparse_index_base_imNS_24const_host_device_scalarIfEENSA_IdEENSA_IS6_EEb.num_named_barrier, 0
	.set _ZN9rocsparseL11bsrilu0_2_8ILj64ELj64ELj8E21rocsparse_complex_numIfEEEv20rocsparse_direction_iPKiS5_PT2_S5_iPiS5_S8_21rocsparse_index_base_imNS_24const_host_device_scalarIfEENSA_IdEENSA_IS6_EEb.private_seg_size, 0
	.set _ZN9rocsparseL11bsrilu0_2_8ILj64ELj64ELj8E21rocsparse_complex_numIfEEEv20rocsparse_direction_iPKiS5_PT2_S5_iPiS5_S8_21rocsparse_index_base_imNS_24const_host_device_scalarIfEENSA_IdEENSA_IS6_EEb.uses_vcc, 1
	.set _ZN9rocsparseL11bsrilu0_2_8ILj64ELj64ELj8E21rocsparse_complex_numIfEEEv20rocsparse_direction_iPKiS5_PT2_S5_iPiS5_S8_21rocsparse_index_base_imNS_24const_host_device_scalarIfEENSA_IdEENSA_IS6_EEb.uses_flat_scratch, 0
	.set _ZN9rocsparseL11bsrilu0_2_8ILj64ELj64ELj8E21rocsparse_complex_numIfEEEv20rocsparse_direction_iPKiS5_PT2_S5_iPiS5_S8_21rocsparse_index_base_imNS_24const_host_device_scalarIfEENSA_IdEENSA_IS6_EEb.has_dyn_sized_stack, 0
	.set _ZN9rocsparseL11bsrilu0_2_8ILj64ELj64ELj8E21rocsparse_complex_numIfEEEv20rocsparse_direction_iPKiS5_PT2_S5_iPiS5_S8_21rocsparse_index_base_imNS_24const_host_device_scalarIfEENSA_IdEENSA_IS6_EEb.has_recursion, 0
	.set _ZN9rocsparseL11bsrilu0_2_8ILj64ELj64ELj8E21rocsparse_complex_numIfEEEv20rocsparse_direction_iPKiS5_PT2_S5_iPiS5_S8_21rocsparse_index_base_imNS_24const_host_device_scalarIfEENSA_IdEENSA_IS6_EEb.has_indirect_call, 0
	.section	.AMDGPU.csdata,"",@progbits
; Kernel info:
; codeLenInByte = 4868
; TotalNumSgprs: 65
; NumVgprs: 33
; NumAgprs: 0
; TotalNumVgprs: 33
; ScratchSize: 0
; MemoryBound: 0
; FloatMode: 240
; IeeeMode: 1
; LDSByteSize: 1152 bytes/workgroup (compile time only)
; SGPRBlocks: 8
; VGPRBlocks: 4
; NumSGPRsForWavesPerEU: 65
; NumVGPRsForWavesPerEU: 33
; AccumOffset: 36
; Occupancy: 8
; WaveLimiterHint : 1
; COMPUTE_PGM_RSRC2:SCRATCH_EN: 0
; COMPUTE_PGM_RSRC2:USER_SGPR: 2
; COMPUTE_PGM_RSRC2:TRAP_HANDLER: 0
; COMPUTE_PGM_RSRC2:TGID_X_EN: 1
; COMPUTE_PGM_RSRC2:TGID_Y_EN: 0
; COMPUTE_PGM_RSRC2:TGID_Z_EN: 0
; COMPUTE_PGM_RSRC2:TIDIG_COMP_CNT: 1
; COMPUTE_PGM_RSRC3_GFX90A:ACCUM_OFFSET: 8
; COMPUTE_PGM_RSRC3_GFX90A:TG_SPLIT: 0
	.section	.text._ZN9rocsparseL12bsrilu0_9_32ILj64ELj64ELj16E21rocsparse_complex_numIfEEEv20rocsparse_direction_iPKiS5_PT2_S5_iPiS5_S8_21rocsparse_index_base_imNS_24const_host_device_scalarIfEENSA_IdEENSA_IS6_EEb,"axG",@progbits,_ZN9rocsparseL12bsrilu0_9_32ILj64ELj64ELj16E21rocsparse_complex_numIfEEEv20rocsparse_direction_iPKiS5_PT2_S5_iPiS5_S8_21rocsparse_index_base_imNS_24const_host_device_scalarIfEENSA_IdEENSA_IS6_EEb,comdat
	.globl	_ZN9rocsparseL12bsrilu0_9_32ILj64ELj64ELj16E21rocsparse_complex_numIfEEEv20rocsparse_direction_iPKiS5_PT2_S5_iPiS5_S8_21rocsparse_index_base_imNS_24const_host_device_scalarIfEENSA_IdEENSA_IS6_EEb ; -- Begin function _ZN9rocsparseL12bsrilu0_9_32ILj64ELj64ELj16E21rocsparse_complex_numIfEEEv20rocsparse_direction_iPKiS5_PT2_S5_iPiS5_S8_21rocsparse_index_base_imNS_24const_host_device_scalarIfEENSA_IdEENSA_IS6_EEb
	.p2align	8
	.type	_ZN9rocsparseL12bsrilu0_9_32ILj64ELj64ELj16E21rocsparse_complex_numIfEEEv20rocsparse_direction_iPKiS5_PT2_S5_iPiS5_S8_21rocsparse_index_base_imNS_24const_host_device_scalarIfEENSA_IdEENSA_IS6_EEb,@function
_ZN9rocsparseL12bsrilu0_9_32ILj64ELj64ELj16E21rocsparse_complex_numIfEEEv20rocsparse_direction_iPKiS5_PT2_S5_iPiS5_S8_21rocsparse_index_base_imNS_24const_host_device_scalarIfEENSA_IdEENSA_IS6_EEb: ; @_ZN9rocsparseL12bsrilu0_9_32ILj64ELj64ELj16E21rocsparse_complex_numIfEEEv20rocsparse_direction_iPKiS5_PT2_S5_iPiS5_S8_21rocsparse_index_base_imNS_24const_host_device_scalarIfEENSA_IdEENSA_IS6_EEb
; %bb.0:
	s_load_dword s3, s[0:1], 0x70
	s_load_dwordx2 s[22:23], s[0:1], 0x48
	s_load_dwordx8 s[36:43], s[0:1], 0x50
	s_waitcnt lgkmcnt(0)
	s_bitcmp1_b32 s3, 0
	s_cselect_b64 s[4:5], -1, 0
	s_cmp_eq_u32 s23, 0
	s_cselect_b64 s[12:13], -1, 0
	s_cmp_lg_u32 s23, 0
	s_cselect_b64 s[6:7], -1, 0
	s_or_b64 s[14:15], s[12:13], s[4:5]
	s_xor_b64 s[8:9], s[14:15], -1
	s_and_b64 s[10:11], s[12:13], exec
	s_cselect_b32 s11, 0, s41
	s_cselect_b32 s10, 0, s40
	s_and_b64 vcc, exec, s[14:15]
	s_cbranch_vccnz .LBB17_2
; %bb.1:
	s_load_dword s3, s[38:39], 0x0
	s_mov_b64 s[10:11], s[40:41]
	s_waitcnt lgkmcnt(0)
	v_mov_b32_e32 v1, s3
	s_andn2_b64 vcc, exec, s[8:9]
	v_mov_b64_e32 v[2:3], s[10:11]
	s_cbranch_vccz .LBB17_3
	s_branch .LBB17_4
.LBB17_2:
	v_mov_b32_e32 v1, s38
	v_cndmask_b32_e64 v1, v1, 0, s[12:13]
	s_andn2_b64 vcc, exec, s[8:9]
	v_mov_b64_e32 v[2:3], s[10:11]
	s_cbranch_vccnz .LBB17_4
.LBB17_3:
	v_mov_b64_e32 v[2:3], s[40:41]
	flat_load_dwordx2 v[2:3], v[2:3]
.LBB17_4:
	s_mov_b32 s66, 0
	v_cndmask_b32_e64 v4, 0, 1, s[6:7]
	v_cmp_ne_u32_e64 s[20:21], 1, v4
	s_andn2_b64 vcc, exec, s[6:7]
	s_mov_b32 s67, s66
	s_cbranch_vccnz .LBB17_10
; %bb.5:
	s_xor_b64 s[6:7], s[4:5], -1
	v_cndmask_b32_e64 v4, 0, 1, s[6:7]
	v_cmp_ne_u32_e64 s[4:5], 1, v4
	s_andn2_b64 vcc, exec, s[6:7]
	s_mov_b32 s66, s42
	s_cbranch_vccnz .LBB17_7
; %bb.6:
	s_load_dword s66, s[42:43], 0x0
.LBB17_7:
	s_and_b64 vcc, exec, s[4:5]
	s_cbranch_vccnz .LBB17_9
; %bb.8:
	s_load_dword s43, s[42:43], 0x4
.LBB17_9:
	s_waitcnt lgkmcnt(0)
	s_mov_b32 s67, s43
.LBB17_10:
	s_load_dwordx4 s[40:43], s[0:1], 0x30
	s_load_dwordx2 s[34:35], s[0:1], 0x40
	s_mov_b32 s3, 0
	s_lshl_b64 s[2:3], s[2:3], 2
	s_waitcnt lgkmcnt(0)
	s_add_u32 s2, s42, s2
	s_addc_u32 s3, s43, s3
	s_load_dword s38, s[2:3], 0x0
	s_load_dwordx8 s[24:31], s[0:1], 0x8
	s_waitcnt lgkmcnt(0)
	s_ashr_i32 s39, s38, 31
	s_lshl_b64 s[42:43], s[38:39], 2
	s_add_u32 s2, s30, s42
	s_addc_u32 s3, s31, s43
	s_load_dword s46, s[2:3], 0x0
	s_waitcnt lgkmcnt(0)
	s_cmp_eq_u32 s46, -1
	s_cbranch_scc1 .LBB17_112
; %bb.11:
	s_add_u32 s2, s24, s42
	s_addc_u32 s3, s25, s43
	s_load_dwordx2 s[4:5], s[2:3], 0x0
	s_load_dwordx2 s[48:49], s[0:1], 0x0
	s_load_dword s23, s[0:1], 0x28
	s_mov_b64 s[44:45], 0
	s_waitcnt lgkmcnt(0)
	s_sub_i32 s50, s4, s22
	s_sub_i32 s33, s5, s22
	s_cmp_ge_i32 s50, s46
	s_cbranch_scc1 .LBB17_101
; %bb.12:
	v_bfe_u32 v25, v0, 10, 10
	v_and_b32_e32 v24, 0x3ff, v0
	v_lshlrev_b32_e32 v4, 4, v25
	s_cmp_lg_u32 s48, 0
	v_add3_u32 v4, v4, v24, s50
	v_lshlrev_b32_e32 v8, 3, v24
	s_movk_i32 s47, 0x88
	s_mul_i32 s0, s23, s50
	s_cselect_b64 s[52:53], -1, 0
	s_cmp_gt_i32 s23, 0
	v_ashrrev_i32_e32 v5, 31, v4
	v_add_u32_e32 v28, 0x880, v8
	v_add_u32_e32 v9, s0, v24
	v_mad_u32_u24 v32, v25, s47, v8
	v_mbcnt_lo_u32_b32 v8, -1, 0
	v_cmp_gt_i32_e64 s[2:3], s23, v24
	v_cmp_le_i32_e64 s[4:5], s23, v24
	v_cmp_gt_i32_e64 s[6:7], s23, v25
	s_cselect_b64 s[54:55], -1, 0
	v_cmp_eq_u32_e64 s[8:9], 0, v25
	v_add_u32_e32 v26, 1, v25
	v_cmp_gt_i32_e64 s[10:11], s33, v4
	s_add_i32 s39, s49, 1
	v_lshl_add_u64 v[6:7], v[4:5], 2, s[26:27]
	v_add_u32_e32 v5, 5, v25
	v_sub_u32_e32 v27, -2, v25
	v_mad_u32_u24 v29, v25, s47, v28
	v_mul_lo_u32 v30, s23, v9
	s_mul_i32 s49, s23, s23
	s_lshl_b32 s68, s23, 4
	v_mul_u32_u24_e32 v31, 0x88, v25
	v_add_u32_e32 v33, 0x880, v32
	v_add_u32_e32 v34, 0x908, v32
	v_mad_u32_u24 v35, v25, s47, s47
	v_mov_b32_e32 v36, 0
	s_movk_i32 s69, 0x220
	v_mbcnt_hi_u32_b32 v37, -1, v8
	s_branch .LBB17_15
.LBB17_13:                              ;   in Loop: Header=BB17_15 Depth=1
	s_mov_b64 s[44:45], -1
.LBB17_14:                              ;   in Loop: Header=BB17_15 Depth=1
	s_add_i32 s50, s50, 1
	s_cmp_lt_i32 s50, s46
	s_cselect_b64 s[0:1], -1, 0
	s_and_b64 s[0:1], s[12:13], s[0:1]
	v_add_u32_e32 v30, s49, v30
	s_and_b64 vcc, exec, s[0:1]
	s_cbranch_vccz .LBB17_101
.LBB17_15:                              ; =>This Loop Header: Depth=1
                                        ;     Child Loop BB17_18 Depth 2
                                        ;       Child Loop BB17_21 Depth 3
                                        ;     Child Loop BB17_27 Depth 2
                                        ;     Child Loop BB17_31 Depth 2
                                        ;       Child Loop BB17_34 Depth 3
                                        ;     Child Loop BB17_41 Depth 2
                                        ;       Child Loop BB17_44 Depth 3
                                        ;         Child Loop BB17_49 Depth 4
                                        ;         Child Loop BB17_53 Depth 4
                                        ;     Child Loop BB17_57 Depth 2
                                        ;       Child Loop BB17_60 Depth 3
                                        ;     Child Loop BB17_69 Depth 2
                                        ;       Child Loop BB17_74 Depth 3
                                        ;       Child Loop BB17_83 Depth 3
                                        ;         Child Loop BB17_86 Depth 4
                                        ;       Child Loop BB17_92 Depth 3
                                        ;         Child Loop BB17_95 Depth 4
                                        ;           Child Loop BB17_96 Depth 5
	s_ashr_i32 s51, s50, 31
	s_lshl_b64 s[0:1], s[50:51], 2
	s_add_u32 s0, s26, s0
	s_addc_u32 s1, s27, s1
	global_load_dword v8, v36, s[0:1]
	s_waitcnt vmcnt(0)
	v_readfirstlane_b32 s51, v8
	s_and_saveexec_b64 s[0:1], s[2:3]
	s_cbranch_execz .LBB17_25
; %bb.16:                               ;   in Loop: Header=BB17_15 Depth=1
	s_mul_i32 s56, s50, s23
	s_mov_b64 s[12:13], 0
	v_mov_b32_e32 v9, v33
	v_mov_b32_e32 v12, v30
	;; [unrolled: 1-line block ×3, first 2 shown]
	s_branch .LBB17_18
.LBB17_17:                              ;   in Loop: Header=BB17_18 Depth=2
	s_or_b64 exec, exec, s[14:15]
	v_add_u32_e32 v8, 16, v8
	v_cmp_le_i32_e32 vcc, s23, v8
	v_add_u32_e32 v12, s68, v12
	s_or_b64 s[12:13], vcc, s[12:13]
	v_add_u32_e32 v9, 0x80, v9
	s_andn2_b64 exec, exec, s[12:13]
	s_cbranch_execz .LBB17_25
.LBB17_18:                              ;   Parent Loop BB17_15 Depth=1
                                        ; =>  This Loop Header: Depth=2
                                        ;       Child Loop BB17_21 Depth 3
	s_and_saveexec_b64 s[14:15], s[6:7]
	s_cbranch_execz .LBB17_17
; %bb.19:                               ;   in Loop: Header=BB17_18 Depth=2
	s_mov_b64 s[16:17], 0
	v_mov_b32_e32 v13, v9
	v_mov_b32_e32 v14, v25
	s_branch .LBB17_21
.LBB17_20:                              ;   in Loop: Header=BB17_21 Depth=3
	v_ashrrev_i32_e32 v11, 31, v10
	v_lshl_add_u64 v[10:11], v[10:11], 3, s[28:29]
	global_load_dwordx2 v[10:11], v[10:11], off
	v_add_u32_e32 v14, 4, v14
	v_cmp_le_i32_e32 vcc, s23, v14
	s_or_b64 s[16:17], vcc, s[16:17]
	s_waitcnt vmcnt(0)
	ds_write_b64 v13, v[10:11]
	v_add_u32_e32 v13, 0x220, v13
	s_andn2_b64 exec, exec, s[16:17]
	s_cbranch_execz .LBB17_17
.LBB17_21:                              ;   Parent Loop BB17_15 Depth=1
                                        ;     Parent Loop BB17_18 Depth=2
                                        ; =>    This Inner Loop Header: Depth=3
	s_and_b64 vcc, exec, s[52:53]
	s_cbranch_vccz .LBB17_23
; %bb.22:                               ;   in Loop: Header=BB17_21 Depth=3
	v_add_u32_e32 v10, s56, v14
	v_mad_u64_u32 v[10:11], s[18:19], v10, s23, v[8:9]
	s_cbranch_execnz .LBB17_20
	s_branch .LBB17_24
.LBB17_23:                              ;   in Loop: Header=BB17_21 Depth=3
                                        ; implicit-def: $vgpr10
.LBB17_24:                              ;   in Loop: Header=BB17_21 Depth=3
	v_add_u32_e32 v10, v12, v14
	s_branch .LBB17_20
.LBB17_25:                              ;   in Loop: Header=BB17_15 Depth=1
	s_or_b64 exec, exec, s[0:1]
	s_sub_i32 s0, s51, s22
	s_ashr_i32 s1, s0, 31
	s_lshl_b64 s[0:1], s[0:1], 2
	s_add_u32 s12, s30, s0
	s_addc_u32 s13, s31, s1
	global_load_dword v8, v36, s[12:13]
	s_waitcnt vmcnt(0)
	v_cmp_eq_u32_e32 vcc, -1, v8
	v_readfirstlane_b32 s51, v8
	v_cmp_ne_u32_e64 s[12:13], -1, v8
	s_cbranch_vccnz .LBB17_13
; %bb.26:                               ;   in Loop: Header=BB17_15 Depth=1
	s_add_u32 s14, s24, s0
	s_addc_u32 s15, s25, s1
	global_load_dword v8, v36, s[14:15] offset:4
	s_add_u32 s0, s40, s0
	s_addc_u32 s1, s41, s1
	s_waitcnt vmcnt(0)
	v_readfirstlane_b32 s70, v8
.LBB17_27:                              ;   Parent Loop BB17_15 Depth=1
                                        ; =>  This Inner Loop Header: Depth=2
	global_load_dword v8, v36, s[0:1] sc1
	s_waitcnt vmcnt(0)
	v_cmp_eq_u32_e32 vcc, 0, v8
	s_cbranch_vccnz .LBB17_27
; %bb.28:                               ;   in Loop: Header=BB17_15 Depth=1
	s_waitcnt lgkmcnt(0)
	buffer_inv sc1
	s_and_saveexec_b64 s[0:1], s[2:3]
	s_cbranch_execz .LBB17_38
; %bb.29:                               ;   in Loop: Header=BB17_15 Depth=1
	s_mul_i32 s58, s51, s23
	v_add_u32_e32 v8, s58, v24
	v_mul_lo_u32 v9, s23, v8
	s_mov_b64 s[14:15], 0
	v_mov_b32_e32 v12, v32
	v_mov_b32_e32 v8, v24
	s_branch .LBB17_31
.LBB17_30:                              ;   in Loop: Header=BB17_31 Depth=2
	s_or_b64 exec, exec, s[16:17]
	v_add_u32_e32 v8, 16, v8
	v_cmp_le_i32_e32 vcc, s23, v8
	v_add_u32_e32 v9, s68, v9
	s_or_b64 s[14:15], vcc, s[14:15]
	v_add_u32_e32 v12, 0x80, v12
	s_andn2_b64 exec, exec, s[14:15]
	s_cbranch_execz .LBB17_38
.LBB17_31:                              ;   Parent Loop BB17_15 Depth=1
                                        ; =>  This Loop Header: Depth=2
                                        ;       Child Loop BB17_34 Depth 3
	s_and_saveexec_b64 s[16:17], s[6:7]
	s_cbranch_execz .LBB17_30
; %bb.32:                               ;   in Loop: Header=BB17_31 Depth=2
	s_mov_b64 s[18:19], 0
	v_mov_b32_e32 v13, v12
	v_mov_b32_e32 v14, v25
	s_branch .LBB17_34
.LBB17_33:                              ;   in Loop: Header=BB17_34 Depth=3
	v_ashrrev_i32_e32 v11, 31, v10
	v_lshl_add_u64 v[10:11], v[10:11], 3, s[28:29]
	global_load_dwordx2 v[10:11], v[10:11], off
	v_add_u32_e32 v14, 4, v14
	v_cmp_le_i32_e32 vcc, s23, v14
	s_or_b64 s[18:19], vcc, s[18:19]
	s_waitcnt vmcnt(0)
	ds_write_b64 v13, v[10:11]
	v_add_u32_e32 v13, 0x220, v13
	s_andn2_b64 exec, exec, s[18:19]
	s_cbranch_execz .LBB17_30
.LBB17_34:                              ;   Parent Loop BB17_15 Depth=1
                                        ;     Parent Loop BB17_31 Depth=2
                                        ; =>    This Inner Loop Header: Depth=3
	s_and_b64 vcc, exec, s[52:53]
	s_cbranch_vccz .LBB17_36
; %bb.35:                               ;   in Loop: Header=BB17_34 Depth=3
	v_add_u32_e32 v10, s58, v14
	v_mad_u64_u32 v[10:11], s[56:57], v10, s23, v[8:9]
	s_cbranch_execnz .LBB17_33
	s_branch .LBB17_37
.LBB17_36:                              ;   in Loop: Header=BB17_34 Depth=3
                                        ; implicit-def: $vgpr10
.LBB17_37:                              ;   in Loop: Header=BB17_34 Depth=3
	v_add_u32_e32 v10, v9, v14
	s_branch .LBB17_33
.LBB17_38:                              ;   in Loop: Header=BB17_15 Depth=1
	s_or_b64 exec, exec, s[0:1]
	s_andn2_b64 vcc, exec, s[54:55]
	s_waitcnt lgkmcnt(0)
	s_cbranch_vccnz .LBB17_54
; %bb.39:                               ;   in Loop: Header=BB17_15 Depth=1
	s_mov_b32 s71, 0
	v_mov_b32_e32 v38, v27
	v_mov_b32_e32 v39, v5
	;; [unrolled: 1-line block ×4, first 2 shown]
	s_mov_b32 s72, 0
	s_branch .LBB17_41
.LBB17_40:                              ;   in Loop: Header=BB17_41 Depth=2
	s_or_b64 exec, exec, s[56:57]
	s_add_i32 s72, s72, 1
	s_add_i32 s71, s71, 8
	v_add_u32_e32 v41, 0x88, v41
	v_add_u32_e32 v40, 0x90, v40
	;; [unrolled: 1-line block ×3, first 2 shown]
	s_cmp_eq_u32 s72, s23
	v_add_u32_e32 v38, -1, v38
	s_waitcnt lgkmcnt(0)
	s_cbranch_scc1 .LBB17_54
.LBB17_41:                              ;   Parent Loop BB17_15 Depth=1
                                        ; =>  This Loop Header: Depth=2
                                        ;       Child Loop BB17_44 Depth 3
                                        ;         Child Loop BB17_49 Depth 4
                                        ;         Child Loop BB17_53 Depth 4
	s_and_saveexec_b64 s[56:57], s[2:3]
	s_cbranch_execz .LBB17_40
; %bb.42:                               ;   in Loop: Header=BB17_41 Depth=2
	v_max_i32_e32 v8, s23, v39
	v_add_u32_e32 v8, v8, v38
	v_lshrrev_b32_e32 v8, 2, v8
	s_mul_i32 s14, s72, 0x88
	s_lshl_b32 s0, s72, 3
	v_add_u32_e32 v8, 1, v8
	s_add_i32 s0, s14, s0
	v_and_b32_e32 v42, 0x7ffffffe, v8
	v_mov_b32_e32 v8, s0
	ds_read_b64 v[8:9], v8
	v_add_u32_e32 v10, s72, v5
	v_max_i32_e32 v10, s23, v10
	v_subrev_u32_e32 v11, s72, v27
	v_add_u32_e32 v14, v10, v11
	s_waitcnt lgkmcnt(0)
	v_mul_f32_e32 v10, v9, v9
	v_fmac_f32_e32 v10, v8, v8
	v_div_scale_f32 v11, s[0:1], v10, v10, 1.0
	v_rcp_f32_e32 v12, v11
	v_lshrrev_b32_e32 v15, 2, v14
	v_add_u32_e32 v16, 1, v15
	s_add_i32 s73, s14, 0x880
	v_fma_f32 v13, -v11, v12, 1.0
	v_fmac_f32_e32 v12, v13, v12
	v_div_scale_f32 v13, vcc, 1.0, v10, 1.0
	v_mul_f32_e32 v17, v13, v12
	v_fma_f32 v18, -v11, v17, v13
	v_fmac_f32_e32 v17, v18, v12
	v_fma_f32 v11, -v11, v17, v13
	v_div_fmas_f32 v11, v11, v12, v17
	v_add_u32_e32 v44, s14, v29
	v_cmp_gt_u32_e64 s[14:15], 44, v14
	v_mul_hi_u32 v14, v15, s69
	v_div_fixup_f32 v10, v11, v10, 1.0
	v_add_u32_e32 v43, s72, v26
	v_cmp_ne_u32_e64 s[16:17], 0, v14
	v_and_b32_e32 v14, 0x7ffffffe, v16
	v_cmp_gt_i32_e32 vcc, s23, v43
	v_mov_b32_e32 v11, v10
	v_mov_b32_e32 v12, v8
	;; [unrolled: 1-line block ×4, first 2 shown]
	v_mul_lo_u32 v45, v15, s69
	s_mov_b32 s74, 0
	v_lshl_add_u32 v46, v14, 2, v43
	v_cmp_ne_u32_e64 s[18:19], v16, v14
	s_mov_b64 s[58:59], 0
	v_mov_b32_e32 v47, v28
	v_mov_b32_e32 v48, v41
	;; [unrolled: 1-line block ×3, first 2 shown]
	s_branch .LBB17_44
.LBB17_43:                              ;   in Loop: Header=BB17_44 Depth=3
	s_or_b64 exec, exec, s[60:61]
	v_add_u32_e32 v49, 16, v49
	s_add_i32 s74, s74, 1
	v_cmp_le_i32_e64 s[0:1], s23, v49
	v_add_u32_e32 v48, 0x80, v48
	s_or_b64 s[58:59], s[0:1], s[58:59]
	v_add_u32_e32 v47, 0x80, v47
	s_andn2_b64 exec, exec, s[58:59]
	s_cbranch_execz .LBB17_40
.LBB17_44:                              ;   Parent Loop BB17_15 Depth=1
                                        ;     Parent Loop BB17_41 Depth=2
                                        ; =>    This Loop Header: Depth=3
                                        ;         Child Loop BB17_49 Depth 4
                                        ;         Child Loop BB17_53 Depth 4
	v_lshl_add_u32 v16, v49, 3, s73
	ds_read_b64 v[14:15], v16
	s_waitcnt lgkmcnt(0)
	v_xor_b32_e32 v19, 0x80000000, v14
	v_mov_b32_e32 v18, v15
	v_pk_mul_f32 v[18:19], v[8:9], v[18:19]
	s_nop 0
	v_pk_fma_f32 v[14:15], v[14:15], v[12:13], v[18:19]
	s_nop 0
	v_pk_mul_f32 v[14:15], v[10:11], v[14:15]
	s_and_saveexec_b64 s[0:1], s[8:9]
; %bb.45:                               ;   in Loop: Header=BB17_44 Depth=3
	ds_write_b64 v16, v[14:15]
; %bb.46:                               ;   in Loop: Header=BB17_44 Depth=3
	s_or_b64 exec, exec, s[0:1]
	s_and_saveexec_b64 s[60:61], vcc
	s_cbranch_execz .LBB17_43
; %bb.47:                               ;   in Loop: Header=BB17_44 Depth=3
	v_lshl_add_u32 v16, s74, 7, v44
	v_add_u32_e32 v16, 0x88, v16
	v_add_u32_e32 v17, v16, v45
	v_cmp_lt_u32_e64 s[0:1], v17, v16
	s_or_b64 s[0:1], s[0:1], s[16:17]
	s_nor_b64 s[64:65], s[14:15], s[0:1]
	s_mov_b64 s[0:1], -1
	v_pk_add_f32 v[16:17], v[14:15], 0 neg_lo:[1,1] neg_hi:[1,1]
	v_mov_b32_e32 v18, v43
	s_and_saveexec_b64 s[62:63], s[64:65]
	s_cbranch_execz .LBB17_51
; %bb.48:                               ;   in Loop: Header=BB17_44 Depth=3
	v_mov_b32_e32 v18, v16
	v_mov_b32_e32 v19, v16
	;; [unrolled: 1-line block ×6, first 2 shown]
	s_mov_b64 s[64:65], 0
	v_mov_b32_e32 v50, v42
	v_mov_b32_e32 v51, v40
	;; [unrolled: 1-line block ×3, first 2 shown]
.LBB17_49:                              ;   Parent Loop BB17_15 Depth=1
                                        ;     Parent Loop BB17_41 Depth=2
                                        ;       Parent Loop BB17_44 Depth=3
                                        ; =>      This Inner Loop Header: Depth=4
	ds_read2_b64 v[54:57], v51 offset1:68
	ds_read2_b64 v[58:61], v52 offset1:68
	v_add_u32_e32 v50, -2, v50
	v_cmp_eq_u32_e64 s[0:1], 0, v50
	s_or_b64 s[64:65], s[0:1], s[64:65]
	s_waitcnt lgkmcnt(1)
	v_mov_b32_e32 v62, v54
	v_mov_b32_e32 v63, v56
	v_mov_b32_e32 v56, v55
	s_waitcnt lgkmcnt(0)
	v_mov_b32_e32 v54, v58
	v_mov_b32_e32 v55, v60
	;; [unrolled: 1-line block ×3, first 2 shown]
	v_pk_fma_f32 v[54:55], v[18:19], v[62:63], v[54:55]
	v_pk_fma_f32 v[58:59], v[20:21], v[62:63], v[60:61]
	;; [unrolled: 1-line block ×4, first 2 shown]
	v_mov_b32_e32 v58, v54
	v_mov_b32_e32 v59, v56
	;; [unrolled: 1-line block ×3, first 2 shown]
	ds_write2_b64 v52, v[58:59], v[56:57] offset1:68
	v_add_u32_e32 v52, 0x440, v52
	v_add_u32_e32 v51, 0x440, v51
	s_andn2_b64 exec, exec, s[64:65]
	s_cbranch_execnz .LBB17_49
; %bb.50:                               ;   in Loop: Header=BB17_44 Depth=3
	s_or_b64 exec, exec, s[64:65]
	s_orn2_b64 s[0:1], s[18:19], exec
	v_mov_b32_e32 v18, v46
.LBB17_51:                              ;   in Loop: Header=BB17_44 Depth=3
	s_or_b64 exec, exec, s[62:63]
	s_and_b64 exec, exec, s[0:1]
	s_cbranch_execz .LBB17_43
; %bb.52:                               ;   in Loop: Header=BB17_44 Depth=3
	v_pk_mov_b32 v[16:17], v[14:15], v[16:17] op_sel:[1,0]
	v_mul_lo_u32 v19, v18, s47
	s_mov_b64 s[62:63], 0
.LBB17_53:                              ;   Parent Loop BB17_15 Depth=1
                                        ;     Parent Loop BB17_41 Depth=2
                                        ;       Parent Loop BB17_44 Depth=3
                                        ; =>      This Inner Loop Header: Depth=4
	v_add_u32_e32 v20, s71, v19
	v_add_u32_e32 v50, v47, v19
	ds_read_b64 v[20:21], v20
	ds_read_b64 v[22:23], v50
	v_add_u32_e32 v18, 4, v18
	v_cmp_le_i32_e64 s[0:1], s23, v18
	v_add_u32_e32 v19, 0x220, v19
	s_or_b64 s[62:63], s[0:1], s[62:63]
	s_waitcnt lgkmcnt(0)
	v_pk_fma_f32 v[22:23], v[14:15], v[20:21], v[22:23] op_sel_hi:[1,0,1] neg_lo:[1,0,0] neg_hi:[1,0,0]
	s_nop 0
	v_pk_fma_f32 v[20:21], v[16:17], v[20:21], v[22:23] op_sel:[0,1,0]
	ds_write_b64 v50, v[20:21]
	s_andn2_b64 exec, exec, s[62:63]
	s_cbranch_execnz .LBB17_53
	s_branch .LBB17_43
.LBB17_54:                              ;   in Loop: Header=BB17_15 Depth=1
	s_and_saveexec_b64 s[0:1], s[2:3]
	s_cbranch_execz .LBB17_64
; %bb.55:                               ;   in Loop: Header=BB17_15 Depth=1
	s_mul_i32 s58, s50, s23
	s_mov_b64 s[14:15], 0
	v_mov_b32_e32 v9, v33
	v_mov_b32_e32 v12, v30
	;; [unrolled: 1-line block ×3, first 2 shown]
	s_branch .LBB17_57
.LBB17_56:                              ;   in Loop: Header=BB17_57 Depth=2
	s_or_b64 exec, exec, s[16:17]
	v_add_u32_e32 v8, 16, v8
	v_cmp_le_i32_e32 vcc, s23, v8
	v_add_u32_e32 v12, s68, v12
	s_or_b64 s[14:15], vcc, s[14:15]
	v_add_u32_e32 v9, 0x80, v9
	s_andn2_b64 exec, exec, s[14:15]
	s_cbranch_execz .LBB17_64
.LBB17_57:                              ;   Parent Loop BB17_15 Depth=1
                                        ; =>  This Loop Header: Depth=2
                                        ;       Child Loop BB17_60 Depth 3
	s_and_saveexec_b64 s[16:17], s[6:7]
	s_cbranch_execz .LBB17_56
; %bb.58:                               ;   in Loop: Header=BB17_57 Depth=2
	s_mov_b64 s[18:19], 0
	v_mov_b32_e32 v13, v9
	v_mov_b32_e32 v14, v25
	s_branch .LBB17_60
.LBB17_59:                              ;   in Loop: Header=BB17_60 Depth=3
	ds_read_b64 v[16:17], v13
	v_add_u32_e32 v14, 4, v14
	v_ashrrev_i32_e32 v11, 31, v10
	v_cmp_le_i32_e32 vcc, s23, v14
	v_lshl_add_u64 v[10:11], v[10:11], 3, s[28:29]
	s_or_b64 s[18:19], vcc, s[18:19]
	v_add_u32_e32 v13, 0x220, v13
	s_waitcnt lgkmcnt(0)
	global_store_dwordx2 v[10:11], v[16:17], off
	s_andn2_b64 exec, exec, s[18:19]
	s_cbranch_execz .LBB17_56
.LBB17_60:                              ;   Parent Loop BB17_15 Depth=1
                                        ;     Parent Loop BB17_57 Depth=2
                                        ; =>    This Inner Loop Header: Depth=3
	s_and_b64 vcc, exec, s[52:53]
	s_cbranch_vccz .LBB17_62
; %bb.61:                               ;   in Loop: Header=BB17_60 Depth=3
	v_add_u32_e32 v10, s58, v14
	v_mad_u64_u32 v[10:11], s[56:57], v10, s23, v[8:9]
	s_cbranch_execnz .LBB17_59
	s_branch .LBB17_63
.LBB17_62:                              ;   in Loop: Header=BB17_60 Depth=3
                                        ; implicit-def: $vgpr10
.LBB17_63:                              ;   in Loop: Header=BB17_60 Depth=3
	v_add_u32_e32 v10, v12, v14
	s_branch .LBB17_59
.LBB17_64:                              ;   in Loop: Header=BB17_15 Depth=1
	s_or_b64 exec, exec, s[0:1]
	s_sub_i32 s60, s70, s22
	s_add_i32 s0, s51, 1
	s_cmp_ge_i32 s0, s60
	s_cbranch_scc1 .LBB17_14
; %bb.65:                               ;   in Loop: Header=BB17_15 Depth=1
	s_mul_i32 s1, s23, s0
	v_add_u32_e32 v8, s1, v24
	v_mul_lo_u32 v14, s23, v8
	s_branch .LBB17_69
.LBB17_66:                              ;   in Loop: Header=BB17_69 Depth=2
	s_or_b64 exec, exec, s[16:17]
.LBB17_67:                              ;   in Loop: Header=BB17_69 Depth=2
	s_or_b64 exec, exec, s[14:15]
.LBB17_68:                              ;   in Loop: Header=BB17_69 Depth=2
	s_add_i32 s0, s0, 1
	s_cmp_lt_i32 s0, s60
	v_add_u32_e32 v14, s49, v14
	s_waitcnt lgkmcnt(0)
	s_cbranch_scc0 .LBB17_14
.LBB17_69:                              ;   Parent Loop BB17_15 Depth=1
                                        ; =>  This Loop Header: Depth=2
                                        ;       Child Loop BB17_74 Depth 3
                                        ;       Child Loop BB17_83 Depth 3
                                        ;         Child Loop BB17_86 Depth 4
                                        ;       Child Loop BB17_92 Depth 3
                                        ;         Child Loop BB17_95 Depth 4
                                        ;           Child Loop BB17_96 Depth 5
	s_ashr_i32 s1, s0, 31
	s_lshl_b64 s[14:15], s[0:1], 2
	s_add_u32 s14, s26, s14
	s_addc_u32 s15, s27, s15
	global_load_dword v8, v36, s[14:15]
	v_mov_b32_e32 v9, s39
	s_and_saveexec_b64 s[14:15], s[10:11]
	s_cbranch_execz .LBB17_71
; %bb.70:                               ;   in Loop: Header=BB17_69 Depth=2
	global_load_dword v9, v[6:7], off
	s_waitcnt vmcnt(0)
	v_subrev_u32_e32 v9, s22, v9
.LBB17_71:                              ;   in Loop: Header=BB17_69 Depth=2
	s_or_b64 exec, exec, s[14:15]
	s_waitcnt vmcnt(0)
	v_subrev_u32_e32 v10, s22, v8
	v_cmp_lt_i32_e32 vcc, v9, v10
	v_mov_b32_e32 v11, v4
	s_and_saveexec_b64 s[14:15], vcc
	s_cbranch_execz .LBB17_77
; %bb.72:                               ;   in Loop: Header=BB17_69 Depth=2
	s_mov_b64 s[16:17], 0
	v_mov_b32_e32 v8, v4
	s_branch .LBB17_74
.LBB17_73:                              ;   in Loop: Header=BB17_74 Depth=3
	s_or_b64 exec, exec, s[18:19]
	v_cmp_ge_i32_e32 vcc, v9, v10
	s_or_b64 s[16:17], vcc, s[16:17]
	v_mov_b32_e32 v8, v11
	s_andn2_b64 exec, exec, s[16:17]
	s_cbranch_execz .LBB17_76
.LBB17_74:                              ;   Parent Loop BB17_15 Depth=1
                                        ;     Parent Loop BB17_69 Depth=2
                                        ; =>    This Inner Loop Header: Depth=3
	v_add_u32_e32 v11, 64, v8
	v_cmp_gt_i32_e32 vcc, s33, v11
	v_mov_b32_e32 v9, s39
	s_and_saveexec_b64 s[18:19], vcc
	s_cbranch_execz .LBB17_73
; %bb.75:                               ;   in Loop: Header=BB17_74 Depth=3
	v_ashrrev_i32_e32 v9, 31, v8
	v_lshl_add_u64 v[8:9], v[8:9], 2, s[26:27]
	global_load_dword v8, v[8:9], off offset:256
	s_waitcnt vmcnt(0)
	v_subrev_u32_e32 v9, s22, v8
	s_branch .LBB17_73
.LBB17_76:                              ;   in Loop: Header=BB17_69 Depth=2
	s_or_b64 exec, exec, s[16:17]
.LBB17_77:                              ;   in Loop: Header=BB17_69 Depth=2
	s_or_b64 exec, exec, s[14:15]
	v_cmp_eq_u32_e32 vcc, v9, v10
	s_cbranch_vccz .LBB17_68
; %bb.78:                               ;   in Loop: Header=BB17_69 Depth=2
	s_ff1_i32_b64 s1, vcc
	v_and_or_b32 v8, v37, 64, s1
	v_lshlrev_b32_e32 v8, 2, v8
	ds_bpermute_b32 v9, v8, v11
	s_and_saveexec_b64 s[14:15], s[4:5]
	s_xor_b64 s[14:15], exec, s[14:15]
	s_cbranch_execz .LBB17_80
; %bb.79:                               ;   in Loop: Header=BB17_69 Depth=2
	s_waitcnt lgkmcnt(0)
                                        ; implicit-def: $vgpr9
.LBB17_80:                              ;   in Loop: Header=BB17_69 Depth=2
	s_andn2_saveexec_b64 s[14:15], s[14:15]
	s_cbranch_execz .LBB17_67
; %bb.81:                               ;   in Loop: Header=BB17_69 Depth=2
	s_mul_i32 s1, s0, s23
	s_mov_b64 s[16:17], 0
	v_mov_b32_e32 v12, v32
	v_mov_b32_e32 v13, v14
	;; [unrolled: 1-line block ×3, first 2 shown]
	s_branch .LBB17_83
.LBB17_82:                              ;   in Loop: Header=BB17_83 Depth=3
	s_or_b64 exec, exec, s[18:19]
	v_add_u32_e32 v8, 16, v8
	v_cmp_le_i32_e32 vcc, s23, v8
	v_add_u32_e32 v13, s68, v13
	s_or_b64 s[16:17], vcc, s[16:17]
	v_add_u32_e32 v12, 0x80, v12
	s_andn2_b64 exec, exec, s[16:17]
	s_cbranch_execz .LBB17_90
.LBB17_83:                              ;   Parent Loop BB17_15 Depth=1
                                        ;     Parent Loop BB17_69 Depth=2
                                        ; =>    This Loop Header: Depth=3
                                        ;         Child Loop BB17_86 Depth 4
	s_and_saveexec_b64 s[18:19], s[6:7]
	s_cbranch_execz .LBB17_82
; %bb.84:                               ;   in Loop: Header=BB17_83 Depth=3
	s_mov_b64 s[56:57], 0
	v_mov_b32_e32 v15, v12
	v_mov_b32_e32 v16, v25
	s_branch .LBB17_86
.LBB17_85:                              ;   in Loop: Header=BB17_86 Depth=4
	v_ashrrev_i32_e32 v11, 31, v10
	v_lshl_add_u64 v[10:11], v[10:11], 3, s[28:29]
	global_load_dwordx2 v[10:11], v[10:11], off
	v_add_u32_e32 v16, 4, v16
	v_cmp_le_i32_e32 vcc, s23, v16
	s_or_b64 s[56:57], vcc, s[56:57]
	s_waitcnt vmcnt(0)
	ds_write_b64 v15, v[10:11]
	v_add_u32_e32 v15, 0x220, v15
	s_andn2_b64 exec, exec, s[56:57]
	s_cbranch_execz .LBB17_82
.LBB17_86:                              ;   Parent Loop BB17_15 Depth=1
                                        ;     Parent Loop BB17_69 Depth=2
                                        ;       Parent Loop BB17_83 Depth=3
                                        ; =>      This Inner Loop Header: Depth=4
	s_and_b64 vcc, exec, s[52:53]
	s_cbranch_vccz .LBB17_88
; %bb.87:                               ;   in Loop: Header=BB17_86 Depth=4
	v_add_u32_e32 v10, s1, v16
	s_waitcnt lgkmcnt(0)
	v_mad_u64_u32 v[10:11], s[58:59], v10, s23, v[8:9]
	s_cbranch_execnz .LBB17_85
	s_branch .LBB17_89
.LBB17_88:                              ;   in Loop: Header=BB17_86 Depth=4
                                        ; implicit-def: $vgpr10
.LBB17_89:                              ;   in Loop: Header=BB17_86 Depth=4
	v_add_u32_e32 v10, v13, v16
	s_branch .LBB17_85
.LBB17_90:                              ;   in Loop: Header=BB17_69 Depth=2
	s_or_b64 exec, exec, s[16:17]
	s_waitcnt lgkmcnt(0)
	v_mul_lo_u32 v9, v9, s23
	s_mov_b64 s[16:17], 0
	v_mov_b32_e32 v15, v28
	v_mov_b32_e32 v8, v24
	s_branch .LBB17_92
.LBB17_91:                              ;   in Loop: Header=BB17_92 Depth=3
	s_or_b64 exec, exec, s[18:19]
	v_add_u32_e32 v8, 16, v8
	v_cmp_le_i32_e32 vcc, s23, v8
	s_or_b64 s[16:17], vcc, s[16:17]
	v_add_u32_e32 v15, 0x80, v15
	s_andn2_b64 exec, exec, s[16:17]
	s_cbranch_execz .LBB17_66
.LBB17_92:                              ;   Parent Loop BB17_15 Depth=1
                                        ;     Parent Loop BB17_69 Depth=2
                                        ; =>    This Loop Header: Depth=3
                                        ;         Child Loop BB17_95 Depth 4
                                        ;           Child Loop BB17_96 Depth 5
	s_and_saveexec_b64 s[18:19], s[6:7]
	s_cbranch_execz .LBB17_91
; %bb.93:                               ;   in Loop: Header=BB17_92 Depth=3
	v_add_u32_e32 v10, v8, v9
	v_mul_lo_u32 v16, v10, s23
	s_mov_b64 s[56:57], 0
	v_mov_b32_e32 v17, v31
	v_mov_b32_e32 v18, v25
	s_branch .LBB17_95
.LBB17_94:                              ;   in Loop: Header=BB17_95 Depth=4
	v_ashrrev_i32_e32 v13, 31, v12
	v_lshl_add_u64 v[12:13], v[12:13], 3, s[28:29]
	global_load_dwordx2 v[20:21], v[12:13], off
	v_add_u32_e32 v18, 4, v18
	v_cmp_le_i32_e32 vcc, s23, v18
	s_or_b64 s[56:57], vcc, s[56:57]
	v_add_u32_e32 v17, 0x220, v17
	s_waitcnt vmcnt(0)
	v_pk_add_f32 v[10:11], v[20:21], v[10:11] neg_lo:[0,1] neg_hi:[0,1]
	global_store_dwordx2 v[12:13], v[10:11], off
	s_andn2_b64 exec, exec, s[56:57]
	s_cbranch_execz .LBB17_91
.LBB17_95:                              ;   Parent Loop BB17_15 Depth=1
                                        ;     Parent Loop BB17_69 Depth=2
                                        ;       Parent Loop BB17_92 Depth=3
                                        ; =>      This Loop Header: Depth=4
                                        ;           Child Loop BB17_96 Depth 5
	v_mov_b32_e32 v10, 0
	v_mov_b32_e32 v12, v15
	;; [unrolled: 1-line block ×3, first 2 shown]
	s_mov_b32 s1, s23
	v_mov_b32_e32 v11, v10
.LBB17_96:                              ;   Parent Loop BB17_15 Depth=1
                                        ;     Parent Loop BB17_69 Depth=2
                                        ;       Parent Loop BB17_92 Depth=3
                                        ;         Parent Loop BB17_95 Depth=4
                                        ; =>        This Inner Loop Header: Depth=5
	ds_read_b64 v[20:21], v13
	ds_read_b64 v[22:23], v12
	s_add_i32 s1, s1, -1
	v_add_u32_e32 v13, 8, v13
	v_add_u32_e32 v12, 0x88, v12
	s_cmp_eq_u32 s1, 0
	s_waitcnt lgkmcnt(0)
	v_xor_b32_e32 v38, 0x80000000, v23
	v_pk_fma_f32 v[10:11], v[22:23], v[20:21], v[10:11] op_sel_hi:[1,0,1]
	v_mov_b32_e32 v39, v22
	v_pk_fma_f32 v[10:11], v[38:39], v[20:21], v[10:11] op_sel:[0,1,0]
	s_cbranch_scc0 .LBB17_96
; %bb.97:                               ;   in Loop: Header=BB17_95 Depth=4
	s_and_b64 vcc, exec, s[52:53]
	s_cbranch_vccz .LBB17_99
; %bb.98:                               ;   in Loop: Header=BB17_95 Depth=4
	v_add_u32_e32 v12, v18, v9
	v_mad_u64_u32 v[12:13], s[58:59], v12, s23, v[8:9]
	s_cbranch_execnz .LBB17_94
	s_branch .LBB17_100
.LBB17_99:                              ;   in Loop: Header=BB17_95 Depth=4
                                        ; implicit-def: $vgpr12
.LBB17_100:                             ;   in Loop: Header=BB17_95 Depth=4
	v_add_u32_e32 v12, v18, v16
	s_branch .LBB17_94
.LBB17_101:
	s_ashr_i32 s47, s46, 31
	s_lshl_b64 s[0:1], s[46:47], 2
	s_add_u32 s0, s26, s0
	s_addc_u32 s1, s27, s1
	v_mov_b32_e32 v4, 0
	global_load_dword v4, v4, s[0:1]
	s_waitcnt vmcnt(0)
	v_subrev_u32_e32 v4, s22, v4
	v_cmp_ne_u32_e32 vcc, s38, v4
	s_cbranch_vccnz .LBB17_152
; %bb.102:
	v_and_b32_e32 v4, 0x3ff, v0
	v_cmp_gt_i32_e64 s[2:3], s23, v4
	v_lshlrev_b32_e32 v5, 3, v4
	s_and_saveexec_b64 s[4:5], s[2:3]
	s_cbranch_execz .LBB17_113
; %bb.103:
	s_mul_i32 s16, s46, s23
	v_bfe_u32 v7, v0, 10, 10
	s_cmp_lg_u32 s48, 0
	v_add_u32_e32 v6, s16, v4
	s_movk_i32 s8, 0x88
	v_cmp_gt_u32_e64 s[0:1], s23, v7
	s_cselect_b64 s[6:7], -1, 0
	v_mul_lo_u32 v10, s23, v6
	s_lshl_b32 s17, s23, 4
	v_mad_u32_u24 v11, v7, s8, v5
	s_mov_b64 s[8:9], 0
	v_mov_b32_e32 v6, v4
	s_branch .LBB17_105
.LBB17_104:                             ;   in Loop: Header=BB17_105 Depth=1
	s_or_b64 exec, exec, s[10:11]
	v_add_u32_e32 v6, 16, v6
	v_cmp_le_i32_e32 vcc, s23, v6
	v_add_u32_e32 v10, s17, v10
	s_or_b64 s[8:9], vcc, s[8:9]
	v_add_u32_e32 v11, 0x80, v11
	s_andn2_b64 exec, exec, s[8:9]
	s_cbranch_execz .LBB17_113
.LBB17_105:                             ; =>This Loop Header: Depth=1
                                        ;     Child Loop BB17_108 Depth 2
	s_and_saveexec_b64 s[10:11], s[0:1]
	s_cbranch_execz .LBB17_104
; %bb.106:                              ;   in Loop: Header=BB17_105 Depth=1
	s_mov_b64 s[12:13], 0
	v_mov_b32_e32 v12, v11
	v_mov_b32_e32 v13, v7
	s_branch .LBB17_108
.LBB17_107:                             ;   in Loop: Header=BB17_108 Depth=2
	v_ashrrev_i32_e32 v9, 31, v8
	v_lshl_add_u64 v[8:9], v[8:9], 3, s[28:29]
	global_load_dwordx2 v[8:9], v[8:9], off
	v_add_u32_e32 v13, 4, v13
	v_cmp_le_i32_e32 vcc, s23, v13
	s_or_b64 s[12:13], vcc, s[12:13]
	s_waitcnt vmcnt(0)
	ds_write_b64 v12, v[8:9]
	v_add_u32_e32 v12, 0x220, v12
	s_andn2_b64 exec, exec, s[12:13]
	s_cbranch_execz .LBB17_104
.LBB17_108:                             ;   Parent Loop BB17_105 Depth=1
                                        ; =>  This Inner Loop Header: Depth=2
	s_and_b64 vcc, exec, s[6:7]
	s_cbranch_vccz .LBB17_110
; %bb.109:                              ;   in Loop: Header=BB17_108 Depth=2
	v_add_u32_e32 v8, s16, v13
	v_mad_u64_u32 v[8:9], s[14:15], v8, s23, v[6:7]
	s_cbranch_execnz .LBB17_107
	s_branch .LBB17_111
.LBB17_110:                             ;   in Loop: Header=BB17_108 Depth=2
                                        ; implicit-def: $vgpr8
.LBB17_111:                             ;   in Loop: Header=BB17_108 Depth=2
	v_add_u32_e32 v8, v10, v13
	s_branch .LBB17_107
.LBB17_112:
	s_mov_b64 s[44:45], -1
	s_branch .LBB17_204
.LBB17_113:
	s_or_b64 exec, exec, s[4:5]
	s_cmp_lt_i32 s23, 1
	s_waitcnt lgkmcnt(0)
	s_cbranch_scc1 .LBB17_141
; %bb.114:
	s_cmp_eq_u64 s[36:37], 8
	v_cvt_f64_f32_e32 v[6:7], v1
	s_cselect_b64 vcc, -1, 0
	v_bfe_u32 v1, v0, 10, 10
	v_cndmask_b32_e32 v2, v6, v2, vcc
	v_or_b32_e32 v6, v4, v1
	v_cmp_eq_u32_e64 s[4:5], 0, v6
	s_movk_i32 s0, 0x88
	v_mul_u32_u24_e32 v6, 0x88, v1
	s_movk_i32 s1, 0x90
	v_cndmask_b32_e32 v3, v7, v3, vcc
	s_mov_b32 s17, 0
	v_cmp_eq_u32_e64 s[6:7], 0, v1
	v_add3_u32 v16, v6, v5, s1
	v_mad_u32_u24 v17, v1, s0, s0
	s_mov_b32 s16, 0xf800000
	v_mov_b32_e32 v18, 0x260
.LBB17_115:                             ; =>This Loop Header: Depth=1
                                        ;     Child Loop BB17_132 Depth 2
                                        ;       Child Loop BB17_136 Depth 3
	s_mul_i32 s18, s17, 0x88
	s_lshl_b32 s0, s17, 3
	s_add_i32 s12, s18, s0
	v_mov_b32_e32 v6, s12
	s_waitcnt lgkmcnt(0)
	ds_read_b64 v[8:9], v6
	s_mov_b64 s[10:11], -1
	s_mov_b64 s[8:9], 0
	s_and_b64 vcc, exec, s[20:21]
	s_mov_b64 s[0:1], 0
                                        ; implicit-def: $vgpr6_vgpr7
	s_cbranch_vccz .LBB17_120
; %bb.116:                              ;   in Loop: Header=BB17_115 Depth=1
	s_and_b64 vcc, exec, s[10:11]
	s_cbranch_vccnz .LBB17_128
.LBB17_117:                             ;   in Loop: Header=BB17_115 Depth=1
	s_andn2_b64 vcc, exec, s[0:1]
                                        ; implicit-def: $sgpr19
	s_cbranch_vccz .LBB17_129
.LBB17_118:                             ;   in Loop: Header=BB17_115 Depth=1
	s_andn2_b64 vcc, exec, s[8:9]
	s_cbranch_vccz .LBB17_138
.LBB17_119:                             ;   in Loop: Header=BB17_115 Depth=1
	v_add_u32_e32 v16, 0x90, v16
	s_cmp_eq_u32 s19, s23
	v_add_u32_e32 v17, 0x90, v17
	s_cbranch_scc0 .LBB17_139
	s_branch .LBB17_141
.LBB17_120:                             ;   in Loop: Header=BB17_115 Depth=1
	s_waitcnt lgkmcnt(0)
	v_cmp_gt_f32_e32 vcc, 0, v8
	s_nop 1
	v_cndmask_b32_e64 v6, v8, -v8, vcc
	v_cmp_gt_f32_e32 vcc, 0, v9
	s_nop 1
	v_cndmask_b32_e64 v7, v9, -v9, vcc
	v_cmp_ngt_f32_e32 vcc, v6, v7
	s_cbranch_vccz .LBB17_123
; %bb.121:                              ;   in Loop: Header=BB17_115 Depth=1
	v_cmp_eq_f32_e32 vcc, 0, v9
	s_cbranch_vccnz .LBB17_140
; %bb.122:                              ;   in Loop: Header=BB17_115 Depth=1
	v_div_scale_f32 v10, s[0:1], v7, v7, v6
	v_rcp_f32_e32 v11, v10
	v_div_scale_f32 v12, vcc, v6, v7, v6
	v_fma_f32 v13, -v10, v11, 1.0
	v_fmac_f32_e32 v11, v13, v11
	v_mul_f32_e32 v13, v12, v11
	v_fma_f32 v14, -v10, v13, v12
	v_fmac_f32_e32 v13, v14, v11
	v_fma_f32 v10, -v10, v13, v12
	v_div_fmas_f32 v10, v10, v11, v13
	v_div_fixup_f32 v10, v10, v7, v6
	v_fma_f32 v10, v10, v10, 1.0
	v_mul_f32_e32 v11, 0x4f800000, v10
	v_cmp_gt_f32_e32 vcc, s16, v10
	s_nop 1
	v_cndmask_b32_e32 v10, v10, v11, vcc
	v_sqrt_f32_e32 v11, v10
	s_nop 0
	v_add_u32_e32 v12, -1, v11
	v_fma_f32 v13, -v12, v11, v10
	v_cmp_ge_f32_e64 s[0:1], 0, v13
	v_add_u32_e32 v13, 1, v11
	s_nop 0
	v_cndmask_b32_e64 v12, v11, v12, s[0:1]
	v_fma_f32 v11, -v13, v11, v10
	v_cmp_lt_f32_e64 s[0:1], 0, v11
	s_nop 1
	v_cndmask_b32_e64 v11, v12, v13, s[0:1]
	v_mul_f32_e32 v12, 0x37800000, v11
	v_cndmask_b32_e32 v11, v11, v12, vcc
	v_cmp_class_f32_e32 vcc, v10, v18
	s_nop 1
	v_cndmask_b32_e32 v10, v11, v10, vcc
	v_mul_f32_e32 v10, v7, v10
	s_cbranch_execz .LBB17_124
	s_branch .LBB17_125
.LBB17_123:                             ;   in Loop: Header=BB17_115 Depth=1
                                        ; implicit-def: $vgpr10
.LBB17_124:                             ;   in Loop: Header=BB17_115 Depth=1
	v_div_scale_f32 v10, s[0:1], v6, v6, v7
	v_rcp_f32_e32 v11, v10
	v_div_scale_f32 v12, vcc, v7, v6, v7
	v_fma_f32 v13, -v10, v11, 1.0
	v_fmac_f32_e32 v11, v13, v11
	v_mul_f32_e32 v13, v12, v11
	v_fma_f32 v14, -v10, v13, v12
	v_fmac_f32_e32 v13, v14, v11
	v_fma_f32 v10, -v10, v13, v12
	v_div_fmas_f32 v10, v10, v11, v13
	v_div_fixup_f32 v7, v10, v6, v7
	v_fma_f32 v7, v7, v7, 1.0
	v_mul_f32_e32 v10, 0x4f800000, v7
	v_cmp_gt_f32_e32 vcc, s16, v7
	s_nop 1
	v_cndmask_b32_e32 v7, v7, v10, vcc
	v_sqrt_f32_e32 v10, v7
	s_nop 0
	v_add_u32_e32 v11, -1, v10
	v_fma_f32 v12, -v11, v10, v7
	v_cmp_ge_f32_e64 s[0:1], 0, v12
	v_add_u32_e32 v12, 1, v10
	s_nop 0
	v_cndmask_b32_e64 v11, v10, v11, s[0:1]
	v_fma_f32 v10, -v12, v10, v7
	v_cmp_lt_f32_e64 s[0:1], 0, v10
	s_nop 1
	v_cndmask_b32_e64 v10, v11, v12, s[0:1]
	v_mul_f32_e32 v11, 0x37800000, v10
	v_cndmask_b32_e32 v10, v10, v11, vcc
	v_cmp_class_f32_e32 vcc, v7, v18
	s_nop 1
	v_cndmask_b32_e32 v7, v10, v7, vcc
	v_mul_f32_e32 v10, v6, v7
.LBB17_125:                             ;   in Loop: Header=BB17_115 Depth=1
	v_cvt_f64_f32_e32 v[6:7], v10
	v_mov_b32_e32 v10, s67
	v_cmp_ge_f64_e32 vcc, v[2:3], v[6:7]
	v_mov_b32_e32 v7, s66
	s_nop 0
	v_cndmask_b32_e32 v6, v9, v10, vcc
	v_cndmask_b32_e32 v7, v8, v7, vcc
	s_and_saveexec_b64 s[0:1], s[4:5]
; %bb.126:                              ;   in Loop: Header=BB17_115 Depth=1
	v_mov_b32_e32 v10, v7
	v_mov_b32_e32 v11, v6
	;; [unrolled: 1-line block ×3, first 2 shown]
	ds_write_b64 v12, v[10:11]
; %bb.127:                              ;   in Loop: Header=BB17_115 Depth=1
	s_or_b64 exec, exec, s[0:1]
	s_mov_b64 s[0:1], -1
	s_branch .LBB17_117
.LBB17_128:                             ;   in Loop: Header=BB17_115 Depth=1
	s_waitcnt lgkmcnt(0)
	v_mov_b32_e32 v7, v8
	v_or_b32_e32 v8, v8, v9
	v_and_b32_e32 v8, 0x7fffffff, v8
	v_mov_b32_e32 v6, v9
	v_cmp_ne_u32_e64 s[0:1], 0, v8
	s_mov_b64 s[8:9], -1
	s_andn2_b64 vcc, exec, s[0:1]
                                        ; implicit-def: $sgpr19
	s_cbranch_vccnz .LBB17_118
.LBB17_129:                             ;   in Loop: Header=BB17_115 Depth=1
	s_add_i32 s19, s17, 1
	v_add_u32_e32 v19, s19, v4
	v_cmp_gt_i32_e32 vcc, s23, v19
	s_and_saveexec_b64 s[8:9], vcc
	s_cbranch_execz .LBB17_137
; %bb.130:                              ;   in Loop: Header=BB17_115 Depth=1
	s_waitcnt lgkmcnt(0)
	v_mul_f32_e32 v8, v6, v6
	v_fmac_f32_e32 v8, v7, v7
	v_div_scale_f32 v9, s[0:1], v8, v8, 1.0
	v_rcp_f32_e32 v10, v9
	v_div_scale_f32 v11, vcc, 1.0, v8, 1.0
	v_add_u32_e32 v20, s19, v1
	v_fma_f32 v12, -v9, v10, 1.0
	v_fmac_f32_e32 v10, v12, v10
	v_mul_f32_e32 v12, v11, v10
	v_fma_f32 v13, -v9, v12, v11
	v_fmac_f32_e32 v12, v13, v10
	v_fma_f32 v9, -v9, v12, v11
	v_div_fmas_f32 v9, v9, v10, v12
	v_div_fixup_f32 v8, v9, v8, 1.0
	v_cmp_gt_i32_e32 vcc, s23, v20
	v_mov_b32_e32 v9, v8
	v_mov_b32_e32 v10, v6
	;; [unrolled: 1-line block ×4, first 2 shown]
	s_mov_b64 s[10:11], 0
	v_mov_b32_e32 v21, v16
	s_branch .LBB17_132
.LBB17_131:                             ;   in Loop: Header=BB17_132 Depth=2
	s_or_b64 exec, exec, s[12:13]
	v_add_u32_e32 v19, 16, v19
	v_cmp_le_i32_e64 s[0:1], s23, v19
	s_or_b64 s[10:11], s[0:1], s[10:11]
	v_add_u32_e32 v21, 0x80, v21
	s_andn2_b64 exec, exec, s[10:11]
	s_cbranch_execz .LBB17_137
.LBB17_132:                             ;   Parent Loop BB17_115 Depth=1
                                        ; =>  This Loop Header: Depth=2
                                        ;       Child Loop BB17_136 Depth 3
	v_lshl_add_u32 v14, v19, 3, s18
	ds_read_b64 v[12:13], v14
	s_waitcnt lgkmcnt(0)
	v_xor_b32_e32 v23, 0x80000000, v12
	v_mov_b32_e32 v22, v13
	v_pk_mul_f32 v[22:23], v[10:11], v[22:23]
	s_nop 0
	v_pk_fma_f32 v[12:13], v[12:13], v[6:7], v[22:23]
	s_nop 0
	v_pk_mul_f32 v[12:13], v[8:9], v[12:13]
	s_and_saveexec_b64 s[0:1], s[6:7]
; %bb.133:                              ;   in Loop: Header=BB17_132 Depth=2
	ds_write_b64 v14, v[12:13]
; %bb.134:                              ;   in Loop: Header=BB17_132 Depth=2
	s_or_b64 exec, exec, s[0:1]
	s_and_saveexec_b64 s[12:13], vcc
	s_cbranch_execz .LBB17_131
; %bb.135:                              ;   in Loop: Header=BB17_132 Depth=2
	v_pk_add_f32 v[14:15], v[12:13], 0 neg_lo:[1,1] neg_hi:[1,1]
	s_mov_b64 s[14:15], 0
	v_pk_mov_b32 v[14:15], v[12:13], v[14:15] op_sel:[1,0]
	v_mov_b32_e32 v22, v17
	v_mov_b32_e32 v23, v21
	;; [unrolled: 1-line block ×3, first 2 shown]
.LBB17_136:                             ;   Parent Loop BB17_115 Depth=1
                                        ;     Parent Loop BB17_132 Depth=2
                                        ; =>    This Inner Loop Header: Depth=3
	ds_read_b64 v[26:27], v22
	ds_read_b64 v[28:29], v23
	v_add_u32_e32 v24, 4, v24
	v_cmp_le_i32_e64 s[0:1], s23, v24
	s_or_b64 s[14:15], s[0:1], s[14:15]
	v_add_u32_e32 v22, 0x220, v22
	s_waitcnt lgkmcnt(0)
	v_pk_fma_f32 v[28:29], v[12:13], v[26:27], v[28:29] op_sel_hi:[1,0,1] neg_lo:[1,0,0] neg_hi:[1,0,0]
	s_nop 0
	v_pk_fma_f32 v[26:27], v[14:15], v[26:27], v[28:29] op_sel:[0,1,0]
	ds_write_b64 v23, v[26:27]
	v_add_u32_e32 v23, 0x220, v23
	s_andn2_b64 exec, exec, s[14:15]
	s_cbranch_execnz .LBB17_136
	s_branch .LBB17_131
.LBB17_137:                             ;   in Loop: Header=BB17_115 Depth=1
	s_or_b64 exec, exec, s[8:9]
	s_cbranch_execnz .LBB17_119
.LBB17_138:                             ;   in Loop: Header=BB17_115 Depth=1
	s_add_i32 s19, s17, 1
	s_mov_b64 s[44:45], -1
	v_add_u32_e32 v16, 0x90, v16
	s_cmp_eq_u32 s19, s23
	v_add_u32_e32 v17, 0x90, v17
	s_cbranch_scc1 .LBB17_141
.LBB17_139:                             ;   in Loop: Header=BB17_115 Depth=1
	s_mov_b32 s17, s19
	s_branch .LBB17_115
.LBB17_140:                             ;   in Loop: Header=BB17_115 Depth=1
	v_mov_b32_e32 v10, 0
	s_cbranch_execz .LBB17_124
	s_branch .LBB17_125
.LBB17_141:
	s_waitcnt lgkmcnt(0)
	s_and_saveexec_b64 s[4:5], s[2:3]
	s_cbranch_execz .LBB17_151
; %bb.142:
	s_mul_i32 s14, s46, s23
	v_bfe_u32 v1, v0, 10, 10
	s_cmp_lg_u32 s48, 0
	v_add_u32_e32 v2, s14, v4
	s_movk_i32 s6, 0x88
	v_cmp_gt_u32_e64 s[0:1], s23, v1
	s_cselect_b64 s[2:3], -1, 0
	v_mul_lo_u32 v6, s23, v2
	s_lshl_b32 s15, s23, 4
	v_mad_u32_u24 v5, v1, s6, v5
	s_mov_b64 s[6:7], 0
	s_branch .LBB17_144
.LBB17_143:                             ;   in Loop: Header=BB17_144 Depth=1
	s_or_b64 exec, exec, s[8:9]
	v_add_u32_e32 v4, 16, v4
	v_cmp_le_i32_e32 vcc, s23, v4
	v_add_u32_e32 v6, s15, v6
	s_or_b64 s[6:7], vcc, s[6:7]
	v_add_u32_e32 v5, 0x80, v5
	s_andn2_b64 exec, exec, s[6:7]
	s_cbranch_execz .LBB17_151
.LBB17_144:                             ; =>This Loop Header: Depth=1
                                        ;     Child Loop BB17_147 Depth 2
	s_and_saveexec_b64 s[8:9], s[0:1]
	s_cbranch_execz .LBB17_143
; %bb.145:                              ;   in Loop: Header=BB17_144 Depth=1
	s_mov_b64 s[10:11], 0
	v_mov_b32_e32 v7, v5
	v_mov_b32_e32 v8, v1
	s_branch .LBB17_147
.LBB17_146:                             ;   in Loop: Header=BB17_147 Depth=2
	ds_read_b64 v[10:11], v7
	v_add_u32_e32 v8, 4, v8
	v_ashrrev_i32_e32 v3, 31, v2
	v_cmp_le_i32_e32 vcc, s23, v8
	v_lshl_add_u64 v[2:3], v[2:3], 3, s[28:29]
	s_or_b64 s[10:11], vcc, s[10:11]
	v_add_u32_e32 v7, 0x220, v7
	s_waitcnt lgkmcnt(0)
	global_store_dwordx2 v[2:3], v[10:11], off
	s_andn2_b64 exec, exec, s[10:11]
	s_cbranch_execz .LBB17_143
.LBB17_147:                             ;   Parent Loop BB17_144 Depth=1
                                        ; =>  This Inner Loop Header: Depth=2
	s_and_b64 vcc, exec, s[2:3]
	s_cbranch_vccz .LBB17_149
; %bb.148:                              ;   in Loop: Header=BB17_147 Depth=2
	v_add_u32_e32 v2, s14, v8
	v_mad_u64_u32 v[2:3], s[12:13], v2, s23, v[4:5]
	s_cbranch_execnz .LBB17_146
	s_branch .LBB17_150
.LBB17_149:                             ;   in Loop: Header=BB17_147 Depth=2
                                        ; implicit-def: $vgpr2
.LBB17_150:                             ;   in Loop: Header=BB17_147 Depth=2
	v_add_u32_e32 v2, v6, v8
	s_branch .LBB17_146
.LBB17_151:
	s_or_b64 exec, exec, s[4:5]
.LBB17_152:
	s_add_i32 s30, s46, 1
	s_cmp_ge_i32 s30, s33
	s_cbranch_scc1 .LBB17_204
; %bb.153:
	v_and_b32_e32 v1, 0x3ff, v0
	s_mul_i32 s10, s23, s30
	v_bfe_u32 v3, v0, 10, 10
	v_add_u32_e32 v2, s10, v1
	s_cmp_lg_u32 s48, 0
	v_mul_lo_u32 v7, s23, v2
	v_mul_u32_u24_e32 v2, 0x88, v3
	v_lshlrev_b32_e32 v4, 3, v1
	s_movk_i32 s10, 0x880
	s_cselect_b64 s[12:13], -1, 0
	s_cmp_gt_i32 s23, 0
	s_movk_i32 s39, 0x88
	v_add3_u32 v8, v2, v4, s10
	v_lshlrev_b32_e32 v2, 3, v3
	s_cselect_b64 s[6:7], -1, 0
	s_cmp_lg_u32 s23, 1
	v_mad_u32_u24 v4, v1, s39, v2
	v_add_u32_e32 v10, 8, v2
	v_add_u32_e32 v11, 0x98, v2
	v_mov_b32_e32 v2, 0x888
	s_cselect_b64 s[8:9], -1, 0
	s_and_b32 s31, s23, 0x7ffffffe
	v_mad_u32_u24 v13, v1, s39, v2
	v_cndmask_b32_e64 v2, 0, 1, s[6:7]
	s_bitcmp1_b32 s23, 0
	v_cmp_ne_u32_e64 s[6:7], 1, v2
	v_cndmask_b32_e64 v2, 0, 1, s[8:9]
	v_cmp_gt_i32_e64 s[0:1], s23, v1
	v_cmp_le_i32_e64 s[2:3], s23, v1
	v_cmp_gt_i32_e64 s[4:5], s23, v3
	v_add_u32_e32 v6, 1, v3
	s_cselect_b64 s[14:15], -1, 0
	s_mul_i32 s36, s23, s23
	s_lshl_b32 s37, s23, 4
	v_add_u32_e32 v9, 0x888, v4
	v_add_u32_e32 v12, 0x890, v4
	v_cmp_ne_u32_e64 s[8:9], 1, v2
	s_branch .LBB17_156
.LBB17_154:                             ;   in Loop: Header=BB17_156 Depth=1
	s_or_b64 exec, exec, s[16:17]
.LBB17_155:                             ;   in Loop: Header=BB17_156 Depth=1
	s_or_b64 exec, exec, s[10:11]
	s_add_i32 s30, s30, 1
	s_cmp_ge_i32 s30, s33
	v_add_u32_e32 v7, s36, v7
	s_cbranch_scc1 .LBB17_204
.LBB17_156:                             ; =>This Loop Header: Depth=1
                                        ;     Child Loop BB17_159 Depth 2
                                        ;       Child Loop BB17_162 Depth 3
                                        ;     Child Loop BB17_170 Depth 2
                                        ;       Child Loop BB17_173 Depth 3
                                        ;         Child Loop BB17_175 Depth 4
                                        ;       Child Loop BB17_178 Depth 3
                                        ;         Child Loop BB17_180 Depth 4
                                        ;     Child Loop BB17_187 Depth 2
                                        ;       Child Loop BB17_189 Depth 3
                                        ;     Child Loop BB17_197 Depth 2
                                        ;       Child Loop BB17_200 Depth 3
	s_waitcnt lgkmcnt(0)
	s_and_saveexec_b64 s[10:11], s[0:1]
	s_cbranch_execz .LBB17_166
; %bb.157:                              ;   in Loop: Header=BB17_156 Depth=1
	s_mul_i32 s26, s30, s23
	s_mov_b64 s[16:17], 0
	v_mov_b32_e32 v14, v8
	v_mov_b32_e32 v15, v7
	;; [unrolled: 1-line block ×3, first 2 shown]
	s_branch .LBB17_159
.LBB17_158:                             ;   in Loop: Header=BB17_159 Depth=2
	s_or_b64 exec, exec, s[18:19]
	v_add_u32_e32 v2, 16, v2
	v_cmp_le_i32_e32 vcc, s23, v2
	v_add_u32_e32 v15, s37, v15
	s_or_b64 s[16:17], vcc, s[16:17]
	v_add_u32_e32 v14, 0x80, v14
	s_andn2_b64 exec, exec, s[16:17]
	s_cbranch_execz .LBB17_166
.LBB17_159:                             ;   Parent Loop BB17_156 Depth=1
                                        ; =>  This Loop Header: Depth=2
                                        ;       Child Loop BB17_162 Depth 3
	s_and_saveexec_b64 s[18:19], s[4:5]
	s_cbranch_execz .LBB17_158
; %bb.160:                              ;   in Loop: Header=BB17_159 Depth=2
	s_mov_b64 s[20:21], 0
	v_mov_b32_e32 v16, v14
	v_mov_b32_e32 v17, v3
	s_branch .LBB17_162
.LBB17_161:                             ;   in Loop: Header=BB17_162 Depth=3
	v_ashrrev_i32_e32 v5, 31, v4
	v_lshl_add_u64 v[4:5], v[4:5], 3, s[28:29]
	global_load_dwordx2 v[4:5], v[4:5], off
	v_add_u32_e32 v17, 4, v17
	v_cmp_le_i32_e32 vcc, s23, v17
	s_or_b64 s[20:21], vcc, s[20:21]
	s_waitcnt vmcnt(0)
	ds_write_b64 v16, v[4:5]
	v_add_u32_e32 v16, 0x220, v16
	s_andn2_b64 exec, exec, s[20:21]
	s_cbranch_execz .LBB17_158
.LBB17_162:                             ;   Parent Loop BB17_156 Depth=1
                                        ;     Parent Loop BB17_159 Depth=2
                                        ; =>    This Inner Loop Header: Depth=3
	s_and_b64 vcc, exec, s[12:13]
	s_cbranch_vccz .LBB17_164
; %bb.163:                              ;   in Loop: Header=BB17_162 Depth=3
	v_add_u32_e32 v4, s26, v17
	v_mad_u64_u32 v[4:5], s[24:25], v4, s23, v[2:3]
	s_cbranch_execnz .LBB17_161
	s_branch .LBB17_165
.LBB17_164:                             ;   in Loop: Header=BB17_162 Depth=3
                                        ; implicit-def: $vgpr4
.LBB17_165:                             ;   in Loop: Header=BB17_162 Depth=3
	v_add_u32_e32 v4, v15, v17
	s_branch .LBB17_161
.LBB17_166:                             ;   in Loop: Header=BB17_156 Depth=1
	s_or_b64 exec, exec, s[10:11]
	s_and_b64 vcc, exec, s[6:7]
	s_waitcnt lgkmcnt(0)
	s_cbranch_vccnz .LBB17_190
; %bb.167:                              ;   in Loop: Header=BB17_156 Depth=1
	s_and_b64 vcc, exec, s[8:9]
	s_mov_b32 s20, 0
	s_cbranch_vccnz .LBB17_181
; %bb.168:                              ;   in Loop: Header=BB17_156 Depth=1
	s_mov_b32 s26, 0
	v_mov_b32_e32 v2, v12
	v_mov_b32_e32 v4, v11
	;; [unrolled: 1-line block ×4, first 2 shown]
	s_branch .LBB17_170
.LBB17_169:                             ;   in Loop: Header=BB17_170 Depth=2
	s_or_b64 exec, exec, s[16:17]
	s_add_i32 s26, s26, 2
	v_add_u32_e32 v14, 16, v14
	v_add_u32_e32 v5, 0x120, v5
	;; [unrolled: 1-line block ×4, first 2 shown]
	s_cmp_eq_u32 s26, s31
	s_mov_b32 s20, s31
	s_cbranch_scc1 .LBB17_181
.LBB17_170:                             ;   Parent Loop BB17_156 Depth=1
                                        ; =>  This Loop Header: Depth=2
                                        ;       Child Loop BB17_173 Depth 3
                                        ;         Child Loop BB17_175 Depth 4
                                        ;       Child Loop BB17_178 Depth 3
                                        ;         Child Loop BB17_180 Depth 4
	s_and_saveexec_b64 s[16:17], s[0:1]
	s_cbranch_execz .LBB17_169
; %bb.171:                              ;   in Loop: Header=BB17_170 Depth=2
	v_add_u32_e32 v15, s26, v6
	s_lshl_b32 s27, s26, 3
	v_cmp_gt_i32_e32 vcc, s23, v15
	s_mov_b64 s[18:19], 0
	s_addk_i32 s27, 0x880
	v_mov_b32_e32 v16, v14
	v_mov_b32_e32 v17, v1
	s_branch .LBB17_173
.LBB17_172:                             ;   in Loop: Header=BB17_173 Depth=3
	s_or_b64 exec, exec, s[20:21]
	v_add_u32_e32 v17, 16, v17
	v_cmp_le_i32_e64 s[10:11], s23, v17
	s_or_b64 s[18:19], s[10:11], s[18:19]
	v_add_u32_e32 v16, 0x880, v16
	s_andn2_b64 exec, exec, s[18:19]
	s_cbranch_execz .LBB17_176
.LBB17_173:                             ;   Parent Loop BB17_156 Depth=1
                                        ;     Parent Loop BB17_170 Depth=2
                                        ; =>    This Loop Header: Depth=3
                                        ;         Child Loop BB17_175 Depth 4
	s_and_saveexec_b64 s[20:21], vcc
	s_cbranch_execz .LBB17_172
; %bb.174:                              ;   in Loop: Header=BB17_173 Depth=3
	v_mul_lo_u32 v18, v17, s39
	v_add_u32_e32 v18, s27, v18
	s_mov_b64 s[24:25], 0
	v_mov_b32_e32 v19, v5
	v_mov_b32_e32 v20, v16
	;; [unrolled: 1-line block ×3, first 2 shown]
.LBB17_175:                             ;   Parent Loop BB17_156 Depth=1
                                        ;     Parent Loop BB17_170 Depth=2
                                        ;       Parent Loop BB17_173 Depth=3
                                        ; =>      This Inner Loop Header: Depth=4
	ds_read_b64 v[22:23], v18
	ds_read_b64 v[24:25], v19
	;; [unrolled: 1-line block ×3, first 2 shown]
	v_add_u32_e32 v21, 4, v21
	v_cmp_le_i32_e64 s[10:11], s23, v21
	s_or_b64 s[24:25], s[10:11], s[24:25]
	s_waitcnt lgkmcnt(1)
	v_pk_add_f32 v[28:29], v[24:25], 0 neg_lo:[1,1] neg_hi:[1,1]
	s_waitcnt lgkmcnt(0)
	v_pk_fma_f32 v[26:27], v[24:25], v[22:23], v[26:27] op_sel_hi:[1,0,1] neg_lo:[1,0,0] neg_hi:[1,0,0]
	v_pk_mov_b32 v[24:25], v[24:25], v[28:29] op_sel:[1,0]
	v_add_u32_e32 v19, 32, v19
	v_pk_fma_f32 v[22:23], v[24:25], v[22:23], v[26:27] op_sel:[0,1,0]
	ds_write_b64 v20, v[22:23]
	v_add_u32_e32 v20, 32, v20
	s_andn2_b64 exec, exec, s[24:25]
	s_cbranch_execnz .LBB17_175
	s_branch .LBB17_172
.LBB17_176:                             ;   in Loop: Header=BB17_170 Depth=2
	s_or_b64 exec, exec, s[18:19]
	v_add3_u32 v15, v6, s26, 1
	v_cmp_gt_i32_e32 vcc, s23, v15
	s_mov_b64 s[18:19], 0
	v_mov_b32_e32 v16, v2
	v_mov_b32_e32 v17, v1
	s_branch .LBB17_178
.LBB17_177:                             ;   in Loop: Header=BB17_178 Depth=3
	s_or_b64 exec, exec, s[20:21]
	v_add_u32_e32 v17, 16, v17
	v_cmp_le_i32_e64 s[10:11], s23, v17
	s_or_b64 s[18:19], s[10:11], s[18:19]
	v_add_u32_e32 v16, 0x880, v16
	s_andn2_b64 exec, exec, s[18:19]
	s_cbranch_execz .LBB17_169
.LBB17_178:                             ;   Parent Loop BB17_156 Depth=1
                                        ;     Parent Loop BB17_170 Depth=2
                                        ; =>    This Loop Header: Depth=3
                                        ;         Child Loop BB17_180 Depth 4
	s_and_saveexec_b64 s[20:21], vcc
	s_cbranch_execz .LBB17_177
; %bb.179:                              ;   in Loop: Header=BB17_178 Depth=3
	v_mul_lo_u32 v18, v17, s39
	v_add_u32_e32 v18, s27, v18
	s_mov_b64 s[24:25], 0
	v_mov_b32_e32 v19, v16
	v_mov_b32_e32 v20, v4
	;; [unrolled: 1-line block ×3, first 2 shown]
.LBB17_180:                             ;   Parent Loop BB17_156 Depth=1
                                        ;     Parent Loop BB17_170 Depth=2
                                        ;       Parent Loop BB17_178 Depth=3
                                        ; =>      This Inner Loop Header: Depth=4
	ds_read_b64 v[22:23], v18 offset:8
	ds_read_b64 v[24:25], v20
	ds_read_b64 v[26:27], v19
	v_add_u32_e32 v21, 4, v21
	v_cmp_le_i32_e64 s[10:11], s23, v21
	v_add_u32_e32 v20, 32, v20
	s_waitcnt lgkmcnt(1)
	v_pk_add_f32 v[28:29], v[24:25], 0 neg_lo:[1,1] neg_hi:[1,1]
	s_waitcnt lgkmcnt(0)
	v_pk_fma_f32 v[26:27], v[24:25], v[22:23], v[26:27] op_sel_hi:[1,0,1] neg_lo:[1,0,0] neg_hi:[1,0,0]
	v_pk_mov_b32 v[24:25], v[24:25], v[28:29] op_sel:[1,0]
	s_or_b64 s[24:25], s[10:11], s[24:25]
	v_pk_fma_f32 v[22:23], v[24:25], v[22:23], v[26:27] op_sel:[0,1,0]
	ds_write_b64 v19, v[22:23]
	v_add_u32_e32 v19, 32, v19
	s_andn2_b64 exec, exec, s[24:25]
	s_cbranch_execnz .LBB17_180
	s_branch .LBB17_177
.LBB17_181:                             ;   in Loop: Header=BB17_156 Depth=1
	s_andn2_b64 vcc, exec, s[14:15]
	s_mov_b64 s[10:11], -1
	s_cbranch_vccnz .LBB17_191
; %bb.182:                              ;   in Loop: Header=BB17_156 Depth=1
	s_and_saveexec_b64 s[10:11], s[2:3]
	s_xor_b64 s[10:11], exec, s[10:11]
	s_cbranch_execz .LBB17_184
; %bb.183:                              ;   in Loop: Header=BB17_156 Depth=1
	s_waitcnt lgkmcnt(0)
.LBB17_184:                             ;   in Loop: Header=BB17_156 Depth=1
	s_or_saveexec_b64 s[16:17], s[10:11]
	s_mov_b64 s[10:11], 0
	s_xor_b64 exec, exec, s[16:17]
	s_cbranch_execz .LBB17_193
; %bb.185:                              ;   in Loop: Header=BB17_156 Depth=1
	v_add_u32_e32 v2, s20, v6
	v_add_u32_e32 v4, s20, v3
	s_mul_i32 s10, s20, 0x90
	s_lshl_b32 s26, s20, 3
	v_cmp_gt_i32_e32 vcc, s23, v2
	v_lshl_add_u32 v4, v4, 3, v13
	v_add_u32_e32 v5, s10, v10
	s_mov_b64 s[18:19], 0
	s_addk_i32 s26, 0x880
	v_mov_b32_e32 v14, v1
	s_branch .LBB17_187
.LBB17_186:                             ;   in Loop: Header=BB17_187 Depth=2
	s_or_b64 exec, exec, s[20:21]
	v_add_u32_e32 v14, 16, v14
	v_cmp_le_i32_e64 s[10:11], s23, v14
	s_or_b64 s[18:19], s[10:11], s[18:19]
	v_add_u32_e32 v4, 0x880, v4
	s_andn2_b64 exec, exec, s[18:19]
	s_cbranch_execz .LBB17_192
.LBB17_187:                             ;   Parent Loop BB17_156 Depth=1
                                        ; =>  This Loop Header: Depth=2
                                        ;       Child Loop BB17_189 Depth 3
	s_and_saveexec_b64 s[20:21], vcc
	s_cbranch_execz .LBB17_186
; %bb.188:                              ;   in Loop: Header=BB17_187 Depth=2
	v_mul_lo_u32 v15, v14, s39
	v_add_u32_e32 v15, s26, v15
	s_mov_b64 s[24:25], 0
	v_mov_b32_e32 v16, v5
	v_mov_b32_e32 v17, v4
	;; [unrolled: 1-line block ×3, first 2 shown]
.LBB17_189:                             ;   Parent Loop BB17_156 Depth=1
                                        ;     Parent Loop BB17_187 Depth=2
                                        ; =>    This Inner Loop Header: Depth=3
	ds_read_b64 v[20:21], v15
	ds_read_b64 v[22:23], v16
	;; [unrolled: 1-line block ×3, first 2 shown]
	v_add_u32_e32 v18, 4, v18
	v_cmp_le_i32_e64 s[10:11], s23, v18
	s_or_b64 s[24:25], s[10:11], s[24:25]
	s_waitcnt lgkmcnt(1)
	v_pk_add_f32 v[26:27], v[22:23], 0 neg_lo:[1,1] neg_hi:[1,1]
	s_waitcnt lgkmcnt(0)
	v_pk_fma_f32 v[24:25], v[22:23], v[20:21], v[24:25] op_sel_hi:[1,0,1] neg_lo:[1,0,0] neg_hi:[1,0,0]
	v_pk_mov_b32 v[22:23], v[22:23], v[26:27] op_sel:[1,0]
	v_add_u32_e32 v16, 32, v16
	v_pk_fma_f32 v[20:21], v[22:23], v[20:21], v[24:25] op_sel:[0,1,0]
	ds_write_b64 v17, v[20:21]
	v_add_u32_e32 v17, 32, v17
	s_andn2_b64 exec, exec, s[24:25]
	s_cbranch_execnz .LBB17_189
	s_branch .LBB17_186
.LBB17_190:                             ;   in Loop: Header=BB17_156 Depth=1
	s_mov_b64 s[10:11], -1
.LBB17_191:                             ;   in Loop: Header=BB17_156 Depth=1
	s_and_saveexec_b64 s[16:17], s[10:11]
	s_xor_b64 s[10:11], exec, s[16:17]
	s_cbranch_execz .LBB17_155
	s_branch .LBB17_194
.LBB17_192:                             ;   in Loop: Header=BB17_156 Depth=1
	s_or_b64 exec, exec, s[18:19]
	s_mov_b64 s[10:11], exec
.LBB17_193:                             ;   in Loop: Header=BB17_156 Depth=1
	s_or_b64 exec, exec, s[16:17]
	s_and_saveexec_b64 s[16:17], s[10:11]
	s_xor_b64 s[10:11], exec, s[16:17]
	s_cbranch_execz .LBB17_155
.LBB17_194:                             ;   in Loop: Header=BB17_156 Depth=1
	s_waitcnt lgkmcnt(0)
	s_and_saveexec_b64 s[16:17], s[0:1]
	s_cbranch_execz .LBB17_154
; %bb.195:                              ;   in Loop: Header=BB17_156 Depth=1
	s_mul_i32 s46, s30, s23
	s_mov_b64 s[18:19], 0
	v_mov_b32_e32 v14, v8
	v_mov_b32_e32 v15, v7
	;; [unrolled: 1-line block ×3, first 2 shown]
	s_branch .LBB17_197
.LBB17_196:                             ;   in Loop: Header=BB17_197 Depth=2
	s_or_b64 exec, exec, s[20:21]
	v_add_u32_e32 v2, 16, v2
	v_cmp_le_i32_e32 vcc, s23, v2
	v_add_u32_e32 v15, s37, v15
	s_or_b64 s[18:19], vcc, s[18:19]
	v_add_u32_e32 v14, 0x80, v14
	s_andn2_b64 exec, exec, s[18:19]
	s_cbranch_execz .LBB17_154
.LBB17_197:                             ;   Parent Loop BB17_156 Depth=1
                                        ; =>  This Loop Header: Depth=2
                                        ;       Child Loop BB17_200 Depth 3
	s_and_saveexec_b64 s[20:21], s[4:5]
	s_cbranch_execz .LBB17_196
; %bb.198:                              ;   in Loop: Header=BB17_197 Depth=2
	s_mov_b64 s[24:25], 0
	v_mov_b32_e32 v16, v14
	v_mov_b32_e32 v17, v3
	s_branch .LBB17_200
.LBB17_199:                             ;   in Loop: Header=BB17_200 Depth=3
	ds_read_b64 v[18:19], v16
	v_add_u32_e32 v17, 4, v17
	v_ashrrev_i32_e32 v5, 31, v4
	v_cmp_le_i32_e32 vcc, s23, v17
	v_lshl_add_u64 v[4:5], v[4:5], 3, s[28:29]
	s_or_b64 s[24:25], vcc, s[24:25]
	v_add_u32_e32 v16, 0x220, v16
	s_waitcnt lgkmcnt(0)
	global_store_dwordx2 v[4:5], v[18:19], off
	s_andn2_b64 exec, exec, s[24:25]
	s_cbranch_execz .LBB17_196
.LBB17_200:                             ;   Parent Loop BB17_156 Depth=1
                                        ;     Parent Loop BB17_197 Depth=2
                                        ; =>    This Inner Loop Header: Depth=3
	s_and_b64 vcc, exec, s[12:13]
	s_cbranch_vccz .LBB17_202
; %bb.201:                              ;   in Loop: Header=BB17_200 Depth=3
	v_add_u32_e32 v4, s46, v17
	v_mad_u64_u32 v[4:5], s[26:27], v4, s23, v[2:3]
	s_cbranch_execnz .LBB17_199
	s_branch .LBB17_203
.LBB17_202:                             ;   in Loop: Header=BB17_200 Depth=3
                                        ; implicit-def: $vgpr4
.LBB17_203:                             ;   in Loop: Header=BB17_200 Depth=3
	v_add_u32_e32 v4, v15, v17
	s_branch .LBB17_199
.LBB17_204:
	v_and_b32_e32 v0, 0xfffff, v0
	v_cmp_eq_u32_e32 vcc, 0, v0
	s_and_saveexec_b64 s[0:1], vcc
	s_cbranch_execz .LBB17_208
; %bb.205:
	s_add_u32 s0, s40, s42
	s_addc_u32 s1, s41, s43
	v_mov_b32_e32 v0, 0
	v_mov_b32_e32 v1, 1
	s_andn2_b64 vcc, exec, s[44:45]
	buffer_wbl2 sc1
	s_waitcnt vmcnt(0) lgkmcnt(0)
	global_store_dword v0, v1, s[0:1] sc1
	s_cbranch_vccnz .LBB17_208
; %bb.206:
	v_mbcnt_lo_u32_b32 v0, exec_lo, 0
	v_mbcnt_hi_u32_b32 v0, exec_hi, v0
	v_cmp_eq_u32_e32 vcc, 0, v0
	s_and_b64 exec, exec, vcc
	s_cbranch_execz .LBB17_208
; %bb.207:
	s_add_i32 s0, s38, s22
	v_mov_b32_e32 v0, 0
	v_mov_b32_e32 v1, s0
	global_atomic_smin v0, v1, s[34:35]
.LBB17_208:
	s_endpgm
	.section	.rodata,"a",@progbits
	.p2align	6, 0x0
	.amdhsa_kernel _ZN9rocsparseL12bsrilu0_9_32ILj64ELj64ELj16E21rocsparse_complex_numIfEEEv20rocsparse_direction_iPKiS5_PT2_S5_iPiS5_S8_21rocsparse_index_base_imNS_24const_host_device_scalarIfEENSA_IdEENSA_IS6_EEb
		.amdhsa_group_segment_fixed_size 4352
		.amdhsa_private_segment_fixed_size 0
		.amdhsa_kernarg_size 116
		.amdhsa_user_sgpr_count 2
		.amdhsa_user_sgpr_dispatch_ptr 0
		.amdhsa_user_sgpr_queue_ptr 0
		.amdhsa_user_sgpr_kernarg_segment_ptr 1
		.amdhsa_user_sgpr_dispatch_id 0
		.amdhsa_user_sgpr_kernarg_preload_length 0
		.amdhsa_user_sgpr_kernarg_preload_offset 0
		.amdhsa_user_sgpr_private_segment_size 0
		.amdhsa_uses_dynamic_stack 0
		.amdhsa_enable_private_segment 0
		.amdhsa_system_sgpr_workgroup_id_x 1
		.amdhsa_system_sgpr_workgroup_id_y 0
		.amdhsa_system_sgpr_workgroup_id_z 0
		.amdhsa_system_sgpr_workgroup_info 0
		.amdhsa_system_vgpr_workitem_id 1
		.amdhsa_next_free_vgpr 64
		.amdhsa_next_free_sgpr 75
		.amdhsa_accum_offset 64
		.amdhsa_reserve_vcc 1
		.amdhsa_float_round_mode_32 0
		.amdhsa_float_round_mode_16_64 0
		.amdhsa_float_denorm_mode_32 3
		.amdhsa_float_denorm_mode_16_64 3
		.amdhsa_dx10_clamp 1
		.amdhsa_ieee_mode 1
		.amdhsa_fp16_overflow 0
		.amdhsa_tg_split 0
		.amdhsa_exception_fp_ieee_invalid_op 0
		.amdhsa_exception_fp_denorm_src 0
		.amdhsa_exception_fp_ieee_div_zero 0
		.amdhsa_exception_fp_ieee_overflow 0
		.amdhsa_exception_fp_ieee_underflow 0
		.amdhsa_exception_fp_ieee_inexact 0
		.amdhsa_exception_int_div_zero 0
	.end_amdhsa_kernel
	.section	.text._ZN9rocsparseL12bsrilu0_9_32ILj64ELj64ELj16E21rocsparse_complex_numIfEEEv20rocsparse_direction_iPKiS5_PT2_S5_iPiS5_S8_21rocsparse_index_base_imNS_24const_host_device_scalarIfEENSA_IdEENSA_IS6_EEb,"axG",@progbits,_ZN9rocsparseL12bsrilu0_9_32ILj64ELj64ELj16E21rocsparse_complex_numIfEEEv20rocsparse_direction_iPKiS5_PT2_S5_iPiS5_S8_21rocsparse_index_base_imNS_24const_host_device_scalarIfEENSA_IdEENSA_IS6_EEb,comdat
.Lfunc_end17:
	.size	_ZN9rocsparseL12bsrilu0_9_32ILj64ELj64ELj16E21rocsparse_complex_numIfEEEv20rocsparse_direction_iPKiS5_PT2_S5_iPiS5_S8_21rocsparse_index_base_imNS_24const_host_device_scalarIfEENSA_IdEENSA_IS6_EEb, .Lfunc_end17-_ZN9rocsparseL12bsrilu0_9_32ILj64ELj64ELj16E21rocsparse_complex_numIfEEEv20rocsparse_direction_iPKiS5_PT2_S5_iPiS5_S8_21rocsparse_index_base_imNS_24const_host_device_scalarIfEENSA_IdEENSA_IS6_EEb
                                        ; -- End function
	.set _ZN9rocsparseL12bsrilu0_9_32ILj64ELj64ELj16E21rocsparse_complex_numIfEEEv20rocsparse_direction_iPKiS5_PT2_S5_iPiS5_S8_21rocsparse_index_base_imNS_24const_host_device_scalarIfEENSA_IdEENSA_IS6_EEb.num_vgpr, 64
	.set _ZN9rocsparseL12bsrilu0_9_32ILj64ELj64ELj16E21rocsparse_complex_numIfEEEv20rocsparse_direction_iPKiS5_PT2_S5_iPiS5_S8_21rocsparse_index_base_imNS_24const_host_device_scalarIfEENSA_IdEENSA_IS6_EEb.num_agpr, 0
	.set _ZN9rocsparseL12bsrilu0_9_32ILj64ELj64ELj16E21rocsparse_complex_numIfEEEv20rocsparse_direction_iPKiS5_PT2_S5_iPiS5_S8_21rocsparse_index_base_imNS_24const_host_device_scalarIfEENSA_IdEENSA_IS6_EEb.numbered_sgpr, 75
	.set _ZN9rocsparseL12bsrilu0_9_32ILj64ELj64ELj16E21rocsparse_complex_numIfEEEv20rocsparse_direction_iPKiS5_PT2_S5_iPiS5_S8_21rocsparse_index_base_imNS_24const_host_device_scalarIfEENSA_IdEENSA_IS6_EEb.num_named_barrier, 0
	.set _ZN9rocsparseL12bsrilu0_9_32ILj64ELj64ELj16E21rocsparse_complex_numIfEEEv20rocsparse_direction_iPKiS5_PT2_S5_iPiS5_S8_21rocsparse_index_base_imNS_24const_host_device_scalarIfEENSA_IdEENSA_IS6_EEb.private_seg_size, 0
	.set _ZN9rocsparseL12bsrilu0_9_32ILj64ELj64ELj16E21rocsparse_complex_numIfEEEv20rocsparse_direction_iPKiS5_PT2_S5_iPiS5_S8_21rocsparse_index_base_imNS_24const_host_device_scalarIfEENSA_IdEENSA_IS6_EEb.uses_vcc, 1
	.set _ZN9rocsparseL12bsrilu0_9_32ILj64ELj64ELj16E21rocsparse_complex_numIfEEEv20rocsparse_direction_iPKiS5_PT2_S5_iPiS5_S8_21rocsparse_index_base_imNS_24const_host_device_scalarIfEENSA_IdEENSA_IS6_EEb.uses_flat_scratch, 0
	.set _ZN9rocsparseL12bsrilu0_9_32ILj64ELj64ELj16E21rocsparse_complex_numIfEEEv20rocsparse_direction_iPKiS5_PT2_S5_iPiS5_S8_21rocsparse_index_base_imNS_24const_host_device_scalarIfEENSA_IdEENSA_IS6_EEb.has_dyn_sized_stack, 0
	.set _ZN9rocsparseL12bsrilu0_9_32ILj64ELj64ELj16E21rocsparse_complex_numIfEEEv20rocsparse_direction_iPKiS5_PT2_S5_iPiS5_S8_21rocsparse_index_base_imNS_24const_host_device_scalarIfEENSA_IdEENSA_IS6_EEb.has_recursion, 0
	.set _ZN9rocsparseL12bsrilu0_9_32ILj64ELj64ELj16E21rocsparse_complex_numIfEEEv20rocsparse_direction_iPKiS5_PT2_S5_iPiS5_S8_21rocsparse_index_base_imNS_24const_host_device_scalarIfEENSA_IdEENSA_IS6_EEb.has_indirect_call, 0
	.section	.AMDGPU.csdata,"",@progbits
; Kernel info:
; codeLenInByte = 6436
; TotalNumSgprs: 81
; NumVgprs: 64
; NumAgprs: 0
; TotalNumVgprs: 64
; ScratchSize: 0
; MemoryBound: 0
; FloatMode: 240
; IeeeMode: 1
; LDSByteSize: 4352 bytes/workgroup (compile time only)
; SGPRBlocks: 10
; VGPRBlocks: 7
; NumSGPRsForWavesPerEU: 81
; NumVGPRsForWavesPerEU: 64
; AccumOffset: 64
; Occupancy: 8
; WaveLimiterHint : 1
; COMPUTE_PGM_RSRC2:SCRATCH_EN: 0
; COMPUTE_PGM_RSRC2:USER_SGPR: 2
; COMPUTE_PGM_RSRC2:TRAP_HANDLER: 0
; COMPUTE_PGM_RSRC2:TGID_X_EN: 1
; COMPUTE_PGM_RSRC2:TGID_Y_EN: 0
; COMPUTE_PGM_RSRC2:TGID_Z_EN: 0
; COMPUTE_PGM_RSRC2:TIDIG_COMP_CNT: 1
; COMPUTE_PGM_RSRC3_GFX90A:ACCUM_OFFSET: 15
; COMPUTE_PGM_RSRC3_GFX90A:TG_SPLIT: 0
	.section	.text._ZN9rocsparseL12bsrilu0_9_32ILj64ELj64ELj32E21rocsparse_complex_numIfEEEv20rocsparse_direction_iPKiS5_PT2_S5_iPiS5_S8_21rocsparse_index_base_imNS_24const_host_device_scalarIfEENSA_IdEENSA_IS6_EEb,"axG",@progbits,_ZN9rocsparseL12bsrilu0_9_32ILj64ELj64ELj32E21rocsparse_complex_numIfEEEv20rocsparse_direction_iPKiS5_PT2_S5_iPiS5_S8_21rocsparse_index_base_imNS_24const_host_device_scalarIfEENSA_IdEENSA_IS6_EEb,comdat
	.globl	_ZN9rocsparseL12bsrilu0_9_32ILj64ELj64ELj32E21rocsparse_complex_numIfEEEv20rocsparse_direction_iPKiS5_PT2_S5_iPiS5_S8_21rocsparse_index_base_imNS_24const_host_device_scalarIfEENSA_IdEENSA_IS6_EEb ; -- Begin function _ZN9rocsparseL12bsrilu0_9_32ILj64ELj64ELj32E21rocsparse_complex_numIfEEEv20rocsparse_direction_iPKiS5_PT2_S5_iPiS5_S8_21rocsparse_index_base_imNS_24const_host_device_scalarIfEENSA_IdEENSA_IS6_EEb
	.p2align	8
	.type	_ZN9rocsparseL12bsrilu0_9_32ILj64ELj64ELj32E21rocsparse_complex_numIfEEEv20rocsparse_direction_iPKiS5_PT2_S5_iPiS5_S8_21rocsparse_index_base_imNS_24const_host_device_scalarIfEENSA_IdEENSA_IS6_EEb,@function
_ZN9rocsparseL12bsrilu0_9_32ILj64ELj64ELj32E21rocsparse_complex_numIfEEEv20rocsparse_direction_iPKiS5_PT2_S5_iPiS5_S8_21rocsparse_index_base_imNS_24const_host_device_scalarIfEENSA_IdEENSA_IS6_EEb: ; @_ZN9rocsparseL12bsrilu0_9_32ILj64ELj64ELj32E21rocsparse_complex_numIfEEEv20rocsparse_direction_iPKiS5_PT2_S5_iPiS5_S8_21rocsparse_index_base_imNS_24const_host_device_scalarIfEENSA_IdEENSA_IS6_EEb
; %bb.0:
	s_load_dword s3, s[0:1], 0x70
	s_load_dwordx2 s[22:23], s[0:1], 0x48
	s_load_dwordx8 s[36:43], s[0:1], 0x50
	s_waitcnt lgkmcnt(0)
	s_bitcmp1_b32 s3, 0
	s_cselect_b64 s[4:5], -1, 0
	s_cmp_eq_u32 s23, 0
	s_cselect_b64 s[12:13], -1, 0
	s_cmp_lg_u32 s23, 0
	s_cselect_b64 s[6:7], -1, 0
	s_or_b64 s[14:15], s[12:13], s[4:5]
	s_xor_b64 s[8:9], s[14:15], -1
	s_and_b64 s[10:11], s[12:13], exec
	s_cselect_b32 s11, 0, s41
	s_cselect_b32 s10, 0, s40
	s_and_b64 vcc, exec, s[14:15]
	s_cbranch_vccnz .LBB18_2
; %bb.1:
	s_load_dword s3, s[38:39], 0x0
	s_mov_b64 s[10:11], s[40:41]
	s_waitcnt lgkmcnt(0)
	v_mov_b32_e32 v1, s3
	s_andn2_b64 vcc, exec, s[8:9]
	v_mov_b64_e32 v[2:3], s[10:11]
	s_cbranch_vccz .LBB18_3
	s_branch .LBB18_4
.LBB18_2:
	v_mov_b32_e32 v1, s38
	v_cndmask_b32_e64 v1, v1, 0, s[12:13]
	s_andn2_b64 vcc, exec, s[8:9]
	v_mov_b64_e32 v[2:3], s[10:11]
	s_cbranch_vccnz .LBB18_4
.LBB18_3:
	v_mov_b64_e32 v[2:3], s[40:41]
	flat_load_dwordx2 v[2:3], v[2:3]
.LBB18_4:
	s_mov_b32 s66, 0
	v_cndmask_b32_e64 v4, 0, 1, s[6:7]
	v_cmp_ne_u32_e64 s[20:21], 1, v4
	s_andn2_b64 vcc, exec, s[6:7]
	s_mov_b32 s67, s66
	s_cbranch_vccnz .LBB18_10
; %bb.5:
	s_xor_b64 s[6:7], s[4:5], -1
	v_cndmask_b32_e64 v4, 0, 1, s[6:7]
	v_cmp_ne_u32_e64 s[4:5], 1, v4
	s_andn2_b64 vcc, exec, s[6:7]
	s_mov_b32 s66, s42
	s_cbranch_vccnz .LBB18_7
; %bb.6:
	s_load_dword s66, s[42:43], 0x0
.LBB18_7:
	s_and_b64 vcc, exec, s[4:5]
	s_cbranch_vccnz .LBB18_9
; %bb.8:
	s_load_dword s43, s[42:43], 0x4
.LBB18_9:
	s_waitcnt lgkmcnt(0)
	s_mov_b32 s67, s43
.LBB18_10:
	s_load_dwordx4 s[40:43], s[0:1], 0x30
	s_load_dwordx2 s[34:35], s[0:1], 0x40
	s_mov_b32 s3, 0
	s_lshl_b64 s[2:3], s[2:3], 2
	s_waitcnt lgkmcnt(0)
	s_add_u32 s2, s42, s2
	s_addc_u32 s3, s43, s3
	s_load_dword s38, s[2:3], 0x0
	s_load_dwordx8 s[24:31], s[0:1], 0x8
	s_waitcnt lgkmcnt(0)
	s_ashr_i32 s39, s38, 31
	s_lshl_b64 s[42:43], s[38:39], 2
	s_add_u32 s2, s30, s42
	s_addc_u32 s3, s31, s43
	s_load_dword s46, s[2:3], 0x0
	s_waitcnt lgkmcnt(0)
	s_cmp_eq_u32 s46, -1
	s_cbranch_scc1 .LBB18_112
; %bb.11:
	s_add_u32 s2, s24, s42
	s_addc_u32 s3, s25, s43
	s_load_dwordx2 s[4:5], s[2:3], 0x0
	s_load_dwordx2 s[48:49], s[0:1], 0x0
	s_load_dword s23, s[0:1], 0x28
	s_mov_b64 s[44:45], 0
	s_waitcnt lgkmcnt(0)
	s_sub_i32 s50, s4, s22
	s_sub_i32 s33, s5, s22
	s_cmp_ge_i32 s50, s46
	s_cbranch_scc1 .LBB18_101
; %bb.12:
	v_bfe_u32 v25, v0, 10, 10
	v_and_b32_e32 v24, 0x3ff, v0
	v_lshlrev_b32_e32 v4, 5, v25
	s_cmp_lg_u32 s48, 0
	v_add3_u32 v4, v4, v24, s50
	v_lshlrev_b32_e32 v8, 3, v24
	s_movk_i32 s47, 0x108
	s_mul_i32 s0, s23, s50
	s_cselect_b64 s[52:53], -1, 0
	s_cmp_gt_i32 s23, 0
	v_ashrrev_i32_e32 v5, 31, v4
	v_add_u32_e32 v28, 0x2100, v8
	v_add_u32_e32 v9, s0, v24
	v_mad_u32_u24 v32, v25, s47, v8
	v_mbcnt_lo_u32_b32 v8, -1, 0
	v_cmp_gt_i32_e64 s[2:3], s23, v24
	v_cmp_le_i32_e64 s[4:5], s23, v24
	v_cmp_gt_i32_e64 s[6:7], s23, v25
	s_cselect_b64 s[54:55], -1, 0
	v_cmp_eq_u32_e64 s[8:9], 0, v25
	v_add_u32_e32 v26, 1, v25
	v_cmp_gt_i32_e64 s[10:11], s33, v4
	s_add_i32 s39, s49, 1
	v_lshl_add_u64 v[6:7], v[4:5], 2, s[26:27]
	v_add_u32_e32 v5, 3, v25
	v_sub_u32_e32 v27, -2, v25
	v_mad_u32_u24 v29, v25, s47, v28
	v_mul_lo_u32 v30, s23, v9
	s_mul_i32 s49, s23, s23
	s_lshl_b32 s68, s23, 5
	v_mul_u32_u24_e32 v31, 0x108, v25
	v_add_u32_e32 v33, 0x2100, v32
	v_add_u32_e32 v34, 0x2208, v32
	v_mad_u32_u24 v35, v25, s47, s47
	v_mov_b32_e32 v36, 0
	s_movk_i32 s69, 0x210
	v_mbcnt_hi_u32_b32 v37, -1, v8
	s_branch .LBB18_15
.LBB18_13:                              ;   in Loop: Header=BB18_15 Depth=1
	s_mov_b64 s[44:45], -1
.LBB18_14:                              ;   in Loop: Header=BB18_15 Depth=1
	s_add_i32 s50, s50, 1
	s_cmp_lt_i32 s50, s46
	s_cselect_b64 s[0:1], -1, 0
	s_and_b64 s[0:1], s[12:13], s[0:1]
	v_add_u32_e32 v30, s49, v30
	s_and_b64 vcc, exec, s[0:1]
	s_cbranch_vccz .LBB18_101
.LBB18_15:                              ; =>This Loop Header: Depth=1
                                        ;     Child Loop BB18_18 Depth 2
                                        ;       Child Loop BB18_21 Depth 3
                                        ;     Child Loop BB18_27 Depth 2
                                        ;     Child Loop BB18_31 Depth 2
                                        ;       Child Loop BB18_34 Depth 3
                                        ;     Child Loop BB18_41 Depth 2
                                        ;       Child Loop BB18_44 Depth 3
                                        ;         Child Loop BB18_49 Depth 4
                                        ;         Child Loop BB18_53 Depth 4
                                        ;     Child Loop BB18_57 Depth 2
                                        ;       Child Loop BB18_60 Depth 3
                                        ;     Child Loop BB18_69 Depth 2
                                        ;       Child Loop BB18_74 Depth 3
                                        ;       Child Loop BB18_83 Depth 3
                                        ;         Child Loop BB18_86 Depth 4
                                        ;       Child Loop BB18_92 Depth 3
                                        ;         Child Loop BB18_95 Depth 4
                                        ;           Child Loop BB18_96 Depth 5
	s_ashr_i32 s51, s50, 31
	s_lshl_b64 s[0:1], s[50:51], 2
	s_add_u32 s0, s26, s0
	s_addc_u32 s1, s27, s1
	global_load_dword v8, v36, s[0:1]
	s_waitcnt vmcnt(0)
	v_readfirstlane_b32 s51, v8
	s_and_saveexec_b64 s[0:1], s[2:3]
	s_cbranch_execz .LBB18_25
; %bb.16:                               ;   in Loop: Header=BB18_15 Depth=1
	s_mul_i32 s56, s50, s23
	s_mov_b64 s[12:13], 0
	v_mov_b32_e32 v9, v33
	v_mov_b32_e32 v12, v30
	;; [unrolled: 1-line block ×3, first 2 shown]
	s_branch .LBB18_18
.LBB18_17:                              ;   in Loop: Header=BB18_18 Depth=2
	s_or_b64 exec, exec, s[14:15]
	v_add_u32_e32 v8, 32, v8
	v_cmp_le_i32_e32 vcc, s23, v8
	v_add_u32_e32 v12, s68, v12
	s_or_b64 s[12:13], vcc, s[12:13]
	v_add_u32_e32 v9, 0x100, v9
	s_andn2_b64 exec, exec, s[12:13]
	s_cbranch_execz .LBB18_25
.LBB18_18:                              ;   Parent Loop BB18_15 Depth=1
                                        ; =>  This Loop Header: Depth=2
                                        ;       Child Loop BB18_21 Depth 3
	s_and_saveexec_b64 s[14:15], s[6:7]
	s_cbranch_execz .LBB18_17
; %bb.19:                               ;   in Loop: Header=BB18_18 Depth=2
	s_mov_b64 s[16:17], 0
	v_mov_b32_e32 v13, v9
	v_mov_b32_e32 v14, v25
	s_branch .LBB18_21
.LBB18_20:                              ;   in Loop: Header=BB18_21 Depth=3
	v_ashrrev_i32_e32 v11, 31, v10
	v_lshl_add_u64 v[10:11], v[10:11], 3, s[28:29]
	global_load_dwordx2 v[10:11], v[10:11], off
	v_add_u32_e32 v14, 2, v14
	v_cmp_le_i32_e32 vcc, s23, v14
	s_or_b64 s[16:17], vcc, s[16:17]
	s_waitcnt vmcnt(0)
	ds_write_b64 v13, v[10:11]
	v_add_u32_e32 v13, 0x210, v13
	s_andn2_b64 exec, exec, s[16:17]
	s_cbranch_execz .LBB18_17
.LBB18_21:                              ;   Parent Loop BB18_15 Depth=1
                                        ;     Parent Loop BB18_18 Depth=2
                                        ; =>    This Inner Loop Header: Depth=3
	s_and_b64 vcc, exec, s[52:53]
	s_cbranch_vccz .LBB18_23
; %bb.22:                               ;   in Loop: Header=BB18_21 Depth=3
	v_add_u32_e32 v10, s56, v14
	v_mad_u64_u32 v[10:11], s[18:19], v10, s23, v[8:9]
	s_cbranch_execnz .LBB18_20
	s_branch .LBB18_24
.LBB18_23:                              ;   in Loop: Header=BB18_21 Depth=3
                                        ; implicit-def: $vgpr10
.LBB18_24:                              ;   in Loop: Header=BB18_21 Depth=3
	v_add_u32_e32 v10, v12, v14
	s_branch .LBB18_20
.LBB18_25:                              ;   in Loop: Header=BB18_15 Depth=1
	s_or_b64 exec, exec, s[0:1]
	s_sub_i32 s0, s51, s22
	s_ashr_i32 s1, s0, 31
	s_lshl_b64 s[0:1], s[0:1], 2
	s_add_u32 s12, s30, s0
	s_addc_u32 s13, s31, s1
	global_load_dword v8, v36, s[12:13]
	s_waitcnt vmcnt(0)
	v_cmp_eq_u32_e32 vcc, -1, v8
	v_readfirstlane_b32 s51, v8
	v_cmp_ne_u32_e64 s[12:13], -1, v8
	s_cbranch_vccnz .LBB18_13
; %bb.26:                               ;   in Loop: Header=BB18_15 Depth=1
	s_add_u32 s14, s24, s0
	s_addc_u32 s15, s25, s1
	global_load_dword v8, v36, s[14:15] offset:4
	s_add_u32 s0, s40, s0
	s_addc_u32 s1, s41, s1
	s_waitcnt vmcnt(0)
	v_readfirstlane_b32 s70, v8
.LBB18_27:                              ;   Parent Loop BB18_15 Depth=1
                                        ; =>  This Inner Loop Header: Depth=2
	global_load_dword v8, v36, s[0:1] sc1
	s_waitcnt vmcnt(0)
	v_cmp_eq_u32_e32 vcc, 0, v8
	s_cbranch_vccnz .LBB18_27
; %bb.28:                               ;   in Loop: Header=BB18_15 Depth=1
	s_waitcnt lgkmcnt(0)
	buffer_inv sc1
	s_and_saveexec_b64 s[0:1], s[2:3]
	s_cbranch_execz .LBB18_38
; %bb.29:                               ;   in Loop: Header=BB18_15 Depth=1
	s_mul_i32 s58, s51, s23
	v_add_u32_e32 v8, s58, v24
	v_mul_lo_u32 v9, s23, v8
	s_mov_b64 s[14:15], 0
	v_mov_b32_e32 v12, v32
	v_mov_b32_e32 v8, v24
	s_branch .LBB18_31
.LBB18_30:                              ;   in Loop: Header=BB18_31 Depth=2
	s_or_b64 exec, exec, s[16:17]
	v_add_u32_e32 v8, 32, v8
	v_cmp_le_i32_e32 vcc, s23, v8
	v_add_u32_e32 v9, s68, v9
	s_or_b64 s[14:15], vcc, s[14:15]
	v_add_u32_e32 v12, 0x100, v12
	s_andn2_b64 exec, exec, s[14:15]
	s_cbranch_execz .LBB18_38
.LBB18_31:                              ;   Parent Loop BB18_15 Depth=1
                                        ; =>  This Loop Header: Depth=2
                                        ;       Child Loop BB18_34 Depth 3
	s_and_saveexec_b64 s[16:17], s[6:7]
	s_cbranch_execz .LBB18_30
; %bb.32:                               ;   in Loop: Header=BB18_31 Depth=2
	s_mov_b64 s[18:19], 0
	v_mov_b32_e32 v13, v12
	v_mov_b32_e32 v14, v25
	s_branch .LBB18_34
.LBB18_33:                              ;   in Loop: Header=BB18_34 Depth=3
	v_ashrrev_i32_e32 v11, 31, v10
	v_lshl_add_u64 v[10:11], v[10:11], 3, s[28:29]
	global_load_dwordx2 v[10:11], v[10:11], off
	v_add_u32_e32 v14, 2, v14
	v_cmp_le_i32_e32 vcc, s23, v14
	s_or_b64 s[18:19], vcc, s[18:19]
	s_waitcnt vmcnt(0)
	ds_write_b64 v13, v[10:11]
	v_add_u32_e32 v13, 0x210, v13
	s_andn2_b64 exec, exec, s[18:19]
	s_cbranch_execz .LBB18_30
.LBB18_34:                              ;   Parent Loop BB18_15 Depth=1
                                        ;     Parent Loop BB18_31 Depth=2
                                        ; =>    This Inner Loop Header: Depth=3
	s_and_b64 vcc, exec, s[52:53]
	s_cbranch_vccz .LBB18_36
; %bb.35:                               ;   in Loop: Header=BB18_34 Depth=3
	v_add_u32_e32 v10, s58, v14
	v_mad_u64_u32 v[10:11], s[56:57], v10, s23, v[8:9]
	s_cbranch_execnz .LBB18_33
	s_branch .LBB18_37
.LBB18_36:                              ;   in Loop: Header=BB18_34 Depth=3
                                        ; implicit-def: $vgpr10
.LBB18_37:                              ;   in Loop: Header=BB18_34 Depth=3
	v_add_u32_e32 v10, v9, v14
	s_branch .LBB18_33
.LBB18_38:                              ;   in Loop: Header=BB18_15 Depth=1
	s_or_b64 exec, exec, s[0:1]
	s_andn2_b64 vcc, exec, s[54:55]
	s_waitcnt lgkmcnt(0)
	s_cbranch_vccnz .LBB18_54
; %bb.39:                               ;   in Loop: Header=BB18_15 Depth=1
	s_mov_b32 s71, 0
	v_mov_b32_e32 v38, v27
	v_mov_b32_e32 v39, v5
	;; [unrolled: 1-line block ×4, first 2 shown]
	s_mov_b32 s72, 0
	s_branch .LBB18_41
.LBB18_40:                              ;   in Loop: Header=BB18_41 Depth=2
	s_or_b64 exec, exec, s[56:57]
	s_add_i32 s72, s72, 1
	s_add_i32 s71, s71, 8
	v_add_u32_e32 v41, 0x108, v41
	v_add_u32_e32 v40, 0x110, v40
	;; [unrolled: 1-line block ×3, first 2 shown]
	s_cmp_eq_u32 s72, s23
	v_add_u32_e32 v38, -1, v38
	s_waitcnt lgkmcnt(0)
	s_cbranch_scc1 .LBB18_54
.LBB18_41:                              ;   Parent Loop BB18_15 Depth=1
                                        ; =>  This Loop Header: Depth=2
                                        ;       Child Loop BB18_44 Depth 3
                                        ;         Child Loop BB18_49 Depth 4
                                        ;         Child Loop BB18_53 Depth 4
	s_and_saveexec_b64 s[56:57], s[2:3]
	s_cbranch_execz .LBB18_40
; %bb.42:                               ;   in Loop: Header=BB18_41 Depth=2
	v_max_i32_e32 v8, s23, v39
	v_add_u32_e32 v8, v8, v38
	v_lshrrev_b32_e32 v8, 1, v8
	s_mul_i32 s14, s72, 0x108
	s_lshl_b32 s0, s72, 3
	v_add_u32_e32 v8, 1, v8
	s_add_i32 s0, s14, s0
	v_and_b32_e32 v42, -2, v8
	v_mov_b32_e32 v8, s0
	ds_read_b64 v[8:9], v8
	v_add_u32_e32 v10, s72, v5
	v_max_i32_e32 v10, s23, v10
	v_subrev_u32_e32 v11, s72, v27
	v_add_u32_e32 v14, v10, v11
	s_waitcnt lgkmcnt(0)
	v_mul_f32_e32 v10, v9, v9
	v_fmac_f32_e32 v10, v8, v8
	v_div_scale_f32 v11, s[0:1], v10, v10, 1.0
	v_rcp_f32_e32 v12, v11
	v_lshrrev_b32_e32 v15, 1, v14
	v_add_u32_e32 v16, 1, v15
	s_add_i32 s73, s14, 0x2100
	v_fma_f32 v13, -v11, v12, 1.0
	v_fmac_f32_e32 v12, v13, v12
	v_div_scale_f32 v13, vcc, 1.0, v10, 1.0
	v_mul_f32_e32 v17, v13, v12
	v_fma_f32 v18, -v11, v17, v13
	v_fmac_f32_e32 v17, v18, v12
	v_fma_f32 v11, -v11, v17, v13
	v_div_fmas_f32 v11, v11, v12, v17
	v_add_u32_e32 v44, s14, v29
	v_cmp_gt_u32_e64 s[14:15], 22, v14
	v_mul_hi_u32 v14, v15, s69
	v_div_fixup_f32 v10, v11, v10, 1.0
	v_add_u32_e32 v43, s72, v26
	v_cmp_ne_u32_e64 s[16:17], 0, v14
	v_and_b32_e32 v14, -2, v16
	v_cmp_gt_i32_e32 vcc, s23, v43
	v_mov_b32_e32 v11, v10
	v_mov_b32_e32 v12, v8
	;; [unrolled: 1-line block ×4, first 2 shown]
	v_mul_lo_u32 v45, v15, s69
	s_mov_b32 s74, 0
	v_lshl_add_u32 v46, v14, 1, v43
	v_cmp_ne_u32_e64 s[18:19], v16, v14
	s_mov_b64 s[58:59], 0
	v_mov_b32_e32 v47, v28
	v_mov_b32_e32 v48, v41
	;; [unrolled: 1-line block ×3, first 2 shown]
	s_branch .LBB18_44
.LBB18_43:                              ;   in Loop: Header=BB18_44 Depth=3
	s_or_b64 exec, exec, s[60:61]
	v_add_u32_e32 v49, 32, v49
	s_add_i32 s74, s74, 1
	v_cmp_le_i32_e64 s[0:1], s23, v49
	v_add_u32_e32 v48, 0x100, v48
	s_or_b64 s[58:59], s[0:1], s[58:59]
	v_add_u32_e32 v47, 0x100, v47
	s_andn2_b64 exec, exec, s[58:59]
	s_cbranch_execz .LBB18_40
.LBB18_44:                              ;   Parent Loop BB18_15 Depth=1
                                        ;     Parent Loop BB18_41 Depth=2
                                        ; =>    This Loop Header: Depth=3
                                        ;         Child Loop BB18_49 Depth 4
                                        ;         Child Loop BB18_53 Depth 4
	v_lshl_add_u32 v16, v49, 3, s73
	ds_read_b64 v[14:15], v16
	s_waitcnt lgkmcnt(0)
	v_xor_b32_e32 v19, 0x80000000, v14
	v_mov_b32_e32 v18, v15
	v_pk_mul_f32 v[18:19], v[8:9], v[18:19]
	s_nop 0
	v_pk_fma_f32 v[14:15], v[14:15], v[12:13], v[18:19]
	s_nop 0
	v_pk_mul_f32 v[14:15], v[10:11], v[14:15]
	s_and_saveexec_b64 s[0:1], s[8:9]
; %bb.45:                               ;   in Loop: Header=BB18_44 Depth=3
	ds_write_b64 v16, v[14:15]
; %bb.46:                               ;   in Loop: Header=BB18_44 Depth=3
	s_or_b64 exec, exec, s[0:1]
	s_and_saveexec_b64 s[60:61], vcc
	s_cbranch_execz .LBB18_43
; %bb.47:                               ;   in Loop: Header=BB18_44 Depth=3
	v_lshl_add_u32 v16, s74, 8, v44
	v_add_u32_e32 v16, 0x108, v16
	v_add_u32_e32 v17, v16, v45
	v_cmp_lt_u32_e64 s[0:1], v17, v16
	s_or_b64 s[0:1], s[0:1], s[16:17]
	s_nor_b64 s[64:65], s[14:15], s[0:1]
	s_mov_b64 s[0:1], -1
	v_pk_add_f32 v[16:17], v[14:15], 0 neg_lo:[1,1] neg_hi:[1,1]
	v_mov_b32_e32 v18, v43
	s_and_saveexec_b64 s[62:63], s[64:65]
	s_cbranch_execz .LBB18_51
; %bb.48:                               ;   in Loop: Header=BB18_44 Depth=3
	v_mov_b32_e32 v18, v16
	v_mov_b32_e32 v19, v16
	;; [unrolled: 1-line block ×6, first 2 shown]
	s_mov_b64 s[64:65], 0
	v_mov_b32_e32 v50, v42
	v_mov_b32_e32 v51, v40
	;; [unrolled: 1-line block ×3, first 2 shown]
.LBB18_49:                              ;   Parent Loop BB18_15 Depth=1
                                        ;     Parent Loop BB18_41 Depth=2
                                        ;       Parent Loop BB18_44 Depth=3
                                        ; =>      This Inner Loop Header: Depth=4
	ds_read2_b64 v[54:57], v51 offset1:66
	ds_read2_b64 v[58:61], v52 offset1:66
	v_add_u32_e32 v50, -2, v50
	v_cmp_eq_u32_e64 s[0:1], 0, v50
	s_or_b64 s[64:65], s[0:1], s[64:65]
	s_waitcnt lgkmcnt(1)
	v_mov_b32_e32 v62, v54
	v_mov_b32_e32 v63, v56
	;; [unrolled: 1-line block ×3, first 2 shown]
	s_waitcnt lgkmcnt(0)
	v_mov_b32_e32 v54, v58
	v_mov_b32_e32 v55, v60
	;; [unrolled: 1-line block ×3, first 2 shown]
	v_pk_fma_f32 v[54:55], v[18:19], v[62:63], v[54:55]
	v_pk_fma_f32 v[58:59], v[20:21], v[62:63], v[60:61]
	;; [unrolled: 1-line block ×4, first 2 shown]
	v_mov_b32_e32 v58, v54
	v_mov_b32_e32 v59, v56
	;; [unrolled: 1-line block ×3, first 2 shown]
	ds_write2_b64 v52, v[58:59], v[56:57] offset1:66
	v_add_u32_e32 v52, 0x420, v52
	v_add_u32_e32 v51, 0x420, v51
	s_andn2_b64 exec, exec, s[64:65]
	s_cbranch_execnz .LBB18_49
; %bb.50:                               ;   in Loop: Header=BB18_44 Depth=3
	s_or_b64 exec, exec, s[64:65]
	s_orn2_b64 s[0:1], s[18:19], exec
	v_mov_b32_e32 v18, v46
.LBB18_51:                              ;   in Loop: Header=BB18_44 Depth=3
	s_or_b64 exec, exec, s[62:63]
	s_and_b64 exec, exec, s[0:1]
	s_cbranch_execz .LBB18_43
; %bb.52:                               ;   in Loop: Header=BB18_44 Depth=3
	v_pk_mov_b32 v[16:17], v[14:15], v[16:17] op_sel:[1,0]
	v_mul_lo_u32 v19, v18, s47
	s_mov_b64 s[62:63], 0
.LBB18_53:                              ;   Parent Loop BB18_15 Depth=1
                                        ;     Parent Loop BB18_41 Depth=2
                                        ;       Parent Loop BB18_44 Depth=3
                                        ; =>      This Inner Loop Header: Depth=4
	v_add_u32_e32 v20, s71, v19
	v_add_u32_e32 v50, v47, v19
	ds_read_b64 v[20:21], v20
	ds_read_b64 v[22:23], v50
	v_add_u32_e32 v18, 2, v18
	v_cmp_le_i32_e64 s[0:1], s23, v18
	v_add_u32_e32 v19, 0x210, v19
	s_or_b64 s[62:63], s[0:1], s[62:63]
	s_waitcnt lgkmcnt(0)
	v_pk_fma_f32 v[22:23], v[14:15], v[20:21], v[22:23] op_sel_hi:[1,0,1] neg_lo:[1,0,0] neg_hi:[1,0,0]
	s_nop 0
	v_pk_fma_f32 v[20:21], v[16:17], v[20:21], v[22:23] op_sel:[0,1,0]
	ds_write_b64 v50, v[20:21]
	s_andn2_b64 exec, exec, s[62:63]
	s_cbranch_execnz .LBB18_53
	s_branch .LBB18_43
.LBB18_54:                              ;   in Loop: Header=BB18_15 Depth=1
	s_and_saveexec_b64 s[0:1], s[2:3]
	s_cbranch_execz .LBB18_64
; %bb.55:                               ;   in Loop: Header=BB18_15 Depth=1
	s_mul_i32 s58, s50, s23
	s_mov_b64 s[14:15], 0
	v_mov_b32_e32 v9, v33
	v_mov_b32_e32 v12, v30
	;; [unrolled: 1-line block ×3, first 2 shown]
	s_branch .LBB18_57
.LBB18_56:                              ;   in Loop: Header=BB18_57 Depth=2
	s_or_b64 exec, exec, s[16:17]
	v_add_u32_e32 v8, 32, v8
	v_cmp_le_i32_e32 vcc, s23, v8
	v_add_u32_e32 v12, s68, v12
	s_or_b64 s[14:15], vcc, s[14:15]
	v_add_u32_e32 v9, 0x100, v9
	s_andn2_b64 exec, exec, s[14:15]
	s_cbranch_execz .LBB18_64
.LBB18_57:                              ;   Parent Loop BB18_15 Depth=1
                                        ; =>  This Loop Header: Depth=2
                                        ;       Child Loop BB18_60 Depth 3
	s_and_saveexec_b64 s[16:17], s[6:7]
	s_cbranch_execz .LBB18_56
; %bb.58:                               ;   in Loop: Header=BB18_57 Depth=2
	s_mov_b64 s[18:19], 0
	v_mov_b32_e32 v13, v9
	v_mov_b32_e32 v14, v25
	s_branch .LBB18_60
.LBB18_59:                              ;   in Loop: Header=BB18_60 Depth=3
	ds_read_b64 v[16:17], v13
	v_add_u32_e32 v14, 2, v14
	v_ashrrev_i32_e32 v11, 31, v10
	v_cmp_le_i32_e32 vcc, s23, v14
	v_lshl_add_u64 v[10:11], v[10:11], 3, s[28:29]
	s_or_b64 s[18:19], vcc, s[18:19]
	v_add_u32_e32 v13, 0x210, v13
	s_waitcnt lgkmcnt(0)
	global_store_dwordx2 v[10:11], v[16:17], off
	s_andn2_b64 exec, exec, s[18:19]
	s_cbranch_execz .LBB18_56
.LBB18_60:                              ;   Parent Loop BB18_15 Depth=1
                                        ;     Parent Loop BB18_57 Depth=2
                                        ; =>    This Inner Loop Header: Depth=3
	s_and_b64 vcc, exec, s[52:53]
	s_cbranch_vccz .LBB18_62
; %bb.61:                               ;   in Loop: Header=BB18_60 Depth=3
	v_add_u32_e32 v10, s58, v14
	v_mad_u64_u32 v[10:11], s[56:57], v10, s23, v[8:9]
	s_cbranch_execnz .LBB18_59
	s_branch .LBB18_63
.LBB18_62:                              ;   in Loop: Header=BB18_60 Depth=3
                                        ; implicit-def: $vgpr10
.LBB18_63:                              ;   in Loop: Header=BB18_60 Depth=3
	v_add_u32_e32 v10, v12, v14
	s_branch .LBB18_59
.LBB18_64:                              ;   in Loop: Header=BB18_15 Depth=1
	s_or_b64 exec, exec, s[0:1]
	s_sub_i32 s60, s70, s22
	s_add_i32 s0, s51, 1
	s_cmp_ge_i32 s0, s60
	s_cbranch_scc1 .LBB18_14
; %bb.65:                               ;   in Loop: Header=BB18_15 Depth=1
	s_mul_i32 s1, s23, s0
	v_add_u32_e32 v8, s1, v24
	v_mul_lo_u32 v14, s23, v8
	s_branch .LBB18_69
.LBB18_66:                              ;   in Loop: Header=BB18_69 Depth=2
	s_or_b64 exec, exec, s[16:17]
.LBB18_67:                              ;   in Loop: Header=BB18_69 Depth=2
	s_or_b64 exec, exec, s[14:15]
.LBB18_68:                              ;   in Loop: Header=BB18_69 Depth=2
	s_add_i32 s0, s0, 1
	s_cmp_lt_i32 s0, s60
	v_add_u32_e32 v14, s49, v14
	s_waitcnt lgkmcnt(0)
	s_cbranch_scc0 .LBB18_14
.LBB18_69:                              ;   Parent Loop BB18_15 Depth=1
                                        ; =>  This Loop Header: Depth=2
                                        ;       Child Loop BB18_74 Depth 3
                                        ;       Child Loop BB18_83 Depth 3
                                        ;         Child Loop BB18_86 Depth 4
                                        ;       Child Loop BB18_92 Depth 3
                                        ;         Child Loop BB18_95 Depth 4
                                        ;           Child Loop BB18_96 Depth 5
	s_ashr_i32 s1, s0, 31
	s_lshl_b64 s[14:15], s[0:1], 2
	s_add_u32 s14, s26, s14
	s_addc_u32 s15, s27, s15
	global_load_dword v8, v36, s[14:15]
	v_mov_b32_e32 v9, s39
	s_and_saveexec_b64 s[14:15], s[10:11]
	s_cbranch_execz .LBB18_71
; %bb.70:                               ;   in Loop: Header=BB18_69 Depth=2
	global_load_dword v9, v[6:7], off
	s_waitcnt vmcnt(0)
	v_subrev_u32_e32 v9, s22, v9
.LBB18_71:                              ;   in Loop: Header=BB18_69 Depth=2
	s_or_b64 exec, exec, s[14:15]
	s_waitcnt vmcnt(0)
	v_subrev_u32_e32 v10, s22, v8
	v_cmp_lt_i32_e32 vcc, v9, v10
	v_mov_b32_e32 v11, v4
	s_and_saveexec_b64 s[14:15], vcc
	s_cbranch_execz .LBB18_77
; %bb.72:                               ;   in Loop: Header=BB18_69 Depth=2
	s_mov_b64 s[16:17], 0
	v_mov_b32_e32 v8, v4
	s_branch .LBB18_74
.LBB18_73:                              ;   in Loop: Header=BB18_74 Depth=3
	s_or_b64 exec, exec, s[18:19]
	v_cmp_ge_i32_e32 vcc, v9, v10
	s_or_b64 s[16:17], vcc, s[16:17]
	v_mov_b32_e32 v8, v11
	s_andn2_b64 exec, exec, s[16:17]
	s_cbranch_execz .LBB18_76
.LBB18_74:                              ;   Parent Loop BB18_15 Depth=1
                                        ;     Parent Loop BB18_69 Depth=2
                                        ; =>    This Inner Loop Header: Depth=3
	v_add_u32_e32 v11, 64, v8
	v_cmp_gt_i32_e32 vcc, s33, v11
	v_mov_b32_e32 v9, s39
	s_and_saveexec_b64 s[18:19], vcc
	s_cbranch_execz .LBB18_73
; %bb.75:                               ;   in Loop: Header=BB18_74 Depth=3
	v_ashrrev_i32_e32 v9, 31, v8
	v_lshl_add_u64 v[8:9], v[8:9], 2, s[26:27]
	global_load_dword v8, v[8:9], off offset:256
	s_waitcnt vmcnt(0)
	v_subrev_u32_e32 v9, s22, v8
	s_branch .LBB18_73
.LBB18_76:                              ;   in Loop: Header=BB18_69 Depth=2
	s_or_b64 exec, exec, s[16:17]
.LBB18_77:                              ;   in Loop: Header=BB18_69 Depth=2
	s_or_b64 exec, exec, s[14:15]
	v_cmp_eq_u32_e32 vcc, v9, v10
	s_cbranch_vccz .LBB18_68
; %bb.78:                               ;   in Loop: Header=BB18_69 Depth=2
	s_ff1_i32_b64 s1, vcc
	v_and_or_b32 v8, v37, 64, s1
	v_lshlrev_b32_e32 v8, 2, v8
	ds_bpermute_b32 v9, v8, v11
	s_and_saveexec_b64 s[14:15], s[4:5]
	s_xor_b64 s[14:15], exec, s[14:15]
	s_cbranch_execz .LBB18_80
; %bb.79:                               ;   in Loop: Header=BB18_69 Depth=2
	s_waitcnt lgkmcnt(0)
                                        ; implicit-def: $vgpr9
.LBB18_80:                              ;   in Loop: Header=BB18_69 Depth=2
	s_andn2_saveexec_b64 s[14:15], s[14:15]
	s_cbranch_execz .LBB18_67
; %bb.81:                               ;   in Loop: Header=BB18_69 Depth=2
	s_mul_i32 s1, s0, s23
	s_mov_b64 s[16:17], 0
	v_mov_b32_e32 v12, v32
	v_mov_b32_e32 v13, v14
	;; [unrolled: 1-line block ×3, first 2 shown]
	s_branch .LBB18_83
.LBB18_82:                              ;   in Loop: Header=BB18_83 Depth=3
	s_or_b64 exec, exec, s[18:19]
	v_add_u32_e32 v8, 32, v8
	v_cmp_le_i32_e32 vcc, s23, v8
	v_add_u32_e32 v13, s68, v13
	s_or_b64 s[16:17], vcc, s[16:17]
	v_add_u32_e32 v12, 0x100, v12
	s_andn2_b64 exec, exec, s[16:17]
	s_cbranch_execz .LBB18_90
.LBB18_83:                              ;   Parent Loop BB18_15 Depth=1
                                        ;     Parent Loop BB18_69 Depth=2
                                        ; =>    This Loop Header: Depth=3
                                        ;         Child Loop BB18_86 Depth 4
	s_and_saveexec_b64 s[18:19], s[6:7]
	s_cbranch_execz .LBB18_82
; %bb.84:                               ;   in Loop: Header=BB18_83 Depth=3
	s_mov_b64 s[56:57], 0
	v_mov_b32_e32 v15, v12
	v_mov_b32_e32 v16, v25
	s_branch .LBB18_86
.LBB18_85:                              ;   in Loop: Header=BB18_86 Depth=4
	v_ashrrev_i32_e32 v11, 31, v10
	v_lshl_add_u64 v[10:11], v[10:11], 3, s[28:29]
	global_load_dwordx2 v[10:11], v[10:11], off
	v_add_u32_e32 v16, 2, v16
	v_cmp_le_i32_e32 vcc, s23, v16
	s_or_b64 s[56:57], vcc, s[56:57]
	s_waitcnt vmcnt(0)
	ds_write_b64 v15, v[10:11]
	v_add_u32_e32 v15, 0x210, v15
	s_andn2_b64 exec, exec, s[56:57]
	s_cbranch_execz .LBB18_82
.LBB18_86:                              ;   Parent Loop BB18_15 Depth=1
                                        ;     Parent Loop BB18_69 Depth=2
                                        ;       Parent Loop BB18_83 Depth=3
                                        ; =>      This Inner Loop Header: Depth=4
	s_and_b64 vcc, exec, s[52:53]
	s_cbranch_vccz .LBB18_88
; %bb.87:                               ;   in Loop: Header=BB18_86 Depth=4
	v_add_u32_e32 v10, s1, v16
	s_waitcnt lgkmcnt(0)
	v_mad_u64_u32 v[10:11], s[58:59], v10, s23, v[8:9]
	s_cbranch_execnz .LBB18_85
	s_branch .LBB18_89
.LBB18_88:                              ;   in Loop: Header=BB18_86 Depth=4
                                        ; implicit-def: $vgpr10
.LBB18_89:                              ;   in Loop: Header=BB18_86 Depth=4
	v_add_u32_e32 v10, v13, v16
	s_branch .LBB18_85
.LBB18_90:                              ;   in Loop: Header=BB18_69 Depth=2
	s_or_b64 exec, exec, s[16:17]
	s_waitcnt lgkmcnt(0)
	v_mul_lo_u32 v9, v9, s23
	s_mov_b64 s[16:17], 0
	v_mov_b32_e32 v15, v28
	v_mov_b32_e32 v8, v24
	s_branch .LBB18_92
.LBB18_91:                              ;   in Loop: Header=BB18_92 Depth=3
	s_or_b64 exec, exec, s[18:19]
	v_add_u32_e32 v8, 32, v8
	v_cmp_le_i32_e32 vcc, s23, v8
	s_or_b64 s[16:17], vcc, s[16:17]
	v_add_u32_e32 v15, 0x100, v15
	s_andn2_b64 exec, exec, s[16:17]
	s_cbranch_execz .LBB18_66
.LBB18_92:                              ;   Parent Loop BB18_15 Depth=1
                                        ;     Parent Loop BB18_69 Depth=2
                                        ; =>    This Loop Header: Depth=3
                                        ;         Child Loop BB18_95 Depth 4
                                        ;           Child Loop BB18_96 Depth 5
	s_and_saveexec_b64 s[18:19], s[6:7]
	s_cbranch_execz .LBB18_91
; %bb.93:                               ;   in Loop: Header=BB18_92 Depth=3
	v_add_u32_e32 v10, v8, v9
	v_mul_lo_u32 v16, v10, s23
	s_mov_b64 s[56:57], 0
	v_mov_b32_e32 v17, v31
	v_mov_b32_e32 v18, v25
	s_branch .LBB18_95
.LBB18_94:                              ;   in Loop: Header=BB18_95 Depth=4
	v_ashrrev_i32_e32 v13, 31, v12
	v_lshl_add_u64 v[12:13], v[12:13], 3, s[28:29]
	global_load_dwordx2 v[20:21], v[12:13], off
	v_add_u32_e32 v18, 2, v18
	v_cmp_le_i32_e32 vcc, s23, v18
	s_or_b64 s[56:57], vcc, s[56:57]
	v_add_u32_e32 v17, 0x210, v17
	s_waitcnt vmcnt(0)
	v_pk_add_f32 v[10:11], v[20:21], v[10:11] neg_lo:[0,1] neg_hi:[0,1]
	global_store_dwordx2 v[12:13], v[10:11], off
	s_andn2_b64 exec, exec, s[56:57]
	s_cbranch_execz .LBB18_91
.LBB18_95:                              ;   Parent Loop BB18_15 Depth=1
                                        ;     Parent Loop BB18_69 Depth=2
                                        ;       Parent Loop BB18_92 Depth=3
                                        ; =>      This Loop Header: Depth=4
                                        ;           Child Loop BB18_96 Depth 5
	v_mov_b32_e32 v10, 0
	v_mov_b32_e32 v12, v15
	;; [unrolled: 1-line block ×3, first 2 shown]
	s_mov_b32 s1, s23
	v_mov_b32_e32 v11, v10
.LBB18_96:                              ;   Parent Loop BB18_15 Depth=1
                                        ;     Parent Loop BB18_69 Depth=2
                                        ;       Parent Loop BB18_92 Depth=3
                                        ;         Parent Loop BB18_95 Depth=4
                                        ; =>        This Inner Loop Header: Depth=5
	ds_read_b64 v[20:21], v13
	ds_read_b64 v[22:23], v12
	s_add_i32 s1, s1, -1
	v_add_u32_e32 v13, 8, v13
	v_add_u32_e32 v12, 0x108, v12
	s_cmp_eq_u32 s1, 0
	s_waitcnt lgkmcnt(0)
	v_xor_b32_e32 v38, 0x80000000, v23
	v_pk_fma_f32 v[10:11], v[22:23], v[20:21], v[10:11] op_sel_hi:[1,0,1]
	v_mov_b32_e32 v39, v22
	v_pk_fma_f32 v[10:11], v[38:39], v[20:21], v[10:11] op_sel:[0,1,0]
	s_cbranch_scc0 .LBB18_96
; %bb.97:                               ;   in Loop: Header=BB18_95 Depth=4
	s_and_b64 vcc, exec, s[52:53]
	s_cbranch_vccz .LBB18_99
; %bb.98:                               ;   in Loop: Header=BB18_95 Depth=4
	v_add_u32_e32 v12, v18, v9
	v_mad_u64_u32 v[12:13], s[58:59], v12, s23, v[8:9]
	s_cbranch_execnz .LBB18_94
	s_branch .LBB18_100
.LBB18_99:                              ;   in Loop: Header=BB18_95 Depth=4
                                        ; implicit-def: $vgpr12
.LBB18_100:                             ;   in Loop: Header=BB18_95 Depth=4
	v_add_u32_e32 v12, v18, v16
	s_branch .LBB18_94
.LBB18_101:
	s_ashr_i32 s47, s46, 31
	s_lshl_b64 s[0:1], s[46:47], 2
	s_add_u32 s0, s26, s0
	s_addc_u32 s1, s27, s1
	v_mov_b32_e32 v4, 0
	global_load_dword v4, v4, s[0:1]
	s_waitcnt vmcnt(0)
	v_subrev_u32_e32 v4, s22, v4
	v_cmp_ne_u32_e32 vcc, s38, v4
	s_cbranch_vccnz .LBB18_152
; %bb.102:
	v_and_b32_e32 v4, 0x3ff, v0
	v_cmp_gt_i32_e64 s[2:3], s23, v4
	v_lshlrev_b32_e32 v5, 3, v4
	s_and_saveexec_b64 s[4:5], s[2:3]
	s_cbranch_execz .LBB18_113
; %bb.103:
	s_mul_i32 s16, s46, s23
	v_bfe_u32 v7, v0, 10, 10
	s_cmp_lg_u32 s48, 0
	v_add_u32_e32 v6, s16, v4
	s_movk_i32 s8, 0x108
	v_cmp_gt_u32_e64 s[0:1], s23, v7
	s_cselect_b64 s[6:7], -1, 0
	v_mul_lo_u32 v10, s23, v6
	s_lshl_b32 s17, s23, 5
	v_mad_u32_u24 v11, v7, s8, v5
	s_mov_b64 s[8:9], 0
	v_mov_b32_e32 v6, v4
	s_branch .LBB18_105
.LBB18_104:                             ;   in Loop: Header=BB18_105 Depth=1
	s_or_b64 exec, exec, s[10:11]
	v_add_u32_e32 v6, 32, v6
	v_cmp_le_i32_e32 vcc, s23, v6
	v_add_u32_e32 v10, s17, v10
	s_or_b64 s[8:9], vcc, s[8:9]
	v_add_u32_e32 v11, 0x100, v11
	s_andn2_b64 exec, exec, s[8:9]
	s_cbranch_execz .LBB18_113
.LBB18_105:                             ; =>This Loop Header: Depth=1
                                        ;     Child Loop BB18_108 Depth 2
	s_and_saveexec_b64 s[10:11], s[0:1]
	s_cbranch_execz .LBB18_104
; %bb.106:                              ;   in Loop: Header=BB18_105 Depth=1
	s_mov_b64 s[12:13], 0
	v_mov_b32_e32 v12, v11
	v_mov_b32_e32 v13, v7
	s_branch .LBB18_108
.LBB18_107:                             ;   in Loop: Header=BB18_108 Depth=2
	v_ashrrev_i32_e32 v9, 31, v8
	v_lshl_add_u64 v[8:9], v[8:9], 3, s[28:29]
	global_load_dwordx2 v[8:9], v[8:9], off
	v_add_u32_e32 v13, 2, v13
	v_cmp_le_i32_e32 vcc, s23, v13
	s_or_b64 s[12:13], vcc, s[12:13]
	s_waitcnt vmcnt(0)
	ds_write_b64 v12, v[8:9]
	v_add_u32_e32 v12, 0x210, v12
	s_andn2_b64 exec, exec, s[12:13]
	s_cbranch_execz .LBB18_104
.LBB18_108:                             ;   Parent Loop BB18_105 Depth=1
                                        ; =>  This Inner Loop Header: Depth=2
	s_and_b64 vcc, exec, s[6:7]
	s_cbranch_vccz .LBB18_110
; %bb.109:                              ;   in Loop: Header=BB18_108 Depth=2
	v_add_u32_e32 v8, s16, v13
	v_mad_u64_u32 v[8:9], s[14:15], v8, s23, v[6:7]
	s_cbranch_execnz .LBB18_107
	s_branch .LBB18_111
.LBB18_110:                             ;   in Loop: Header=BB18_108 Depth=2
                                        ; implicit-def: $vgpr8
.LBB18_111:                             ;   in Loop: Header=BB18_108 Depth=2
	v_add_u32_e32 v8, v10, v13
	s_branch .LBB18_107
.LBB18_112:
	s_mov_b64 s[44:45], -1
	s_branch .LBB18_204
.LBB18_113:
	s_or_b64 exec, exec, s[4:5]
	s_cmp_lt_i32 s23, 1
	s_waitcnt lgkmcnt(0)
	s_cbranch_scc1 .LBB18_141
; %bb.114:
	s_cmp_eq_u64 s[36:37], 8
	v_cvt_f64_f32_e32 v[6:7], v1
	s_cselect_b64 vcc, -1, 0
	v_bfe_u32 v1, v0, 10, 10
	v_cndmask_b32_e32 v2, v6, v2, vcc
	v_or_b32_e32 v6, v4, v1
	v_cmp_eq_u32_e64 s[4:5], 0, v6
	s_movk_i32 s0, 0x108
	v_mul_u32_u24_e32 v6, 0x108, v1
	s_movk_i32 s1, 0x110
	v_cndmask_b32_e32 v3, v7, v3, vcc
	s_mov_b32 s17, 0
	v_cmp_eq_u32_e64 s[6:7], 0, v1
	v_add3_u32 v16, v6, v5, s1
	v_mad_u32_u24 v17, v1, s0, s0
	s_mov_b32 s16, 0xf800000
	v_mov_b32_e32 v18, 0x260
.LBB18_115:                             ; =>This Loop Header: Depth=1
                                        ;     Child Loop BB18_132 Depth 2
                                        ;       Child Loop BB18_136 Depth 3
	s_mul_i32 s18, s17, 0x108
	s_lshl_b32 s0, s17, 3
	s_add_i32 s12, s18, s0
	v_mov_b32_e32 v6, s12
	s_waitcnt lgkmcnt(0)
	ds_read_b64 v[8:9], v6
	s_mov_b64 s[10:11], -1
	s_mov_b64 s[8:9], 0
	s_and_b64 vcc, exec, s[20:21]
	s_mov_b64 s[0:1], 0
                                        ; implicit-def: $vgpr6_vgpr7
	s_cbranch_vccz .LBB18_120
; %bb.116:                              ;   in Loop: Header=BB18_115 Depth=1
	s_and_b64 vcc, exec, s[10:11]
	s_cbranch_vccnz .LBB18_128
.LBB18_117:                             ;   in Loop: Header=BB18_115 Depth=1
	s_andn2_b64 vcc, exec, s[0:1]
                                        ; implicit-def: $sgpr19
	s_cbranch_vccz .LBB18_129
.LBB18_118:                             ;   in Loop: Header=BB18_115 Depth=1
	s_andn2_b64 vcc, exec, s[8:9]
	s_cbranch_vccz .LBB18_138
.LBB18_119:                             ;   in Loop: Header=BB18_115 Depth=1
	v_add_u32_e32 v16, 0x110, v16
	s_cmp_eq_u32 s19, s23
	v_add_u32_e32 v17, 0x110, v17
	s_cbranch_scc0 .LBB18_139
	s_branch .LBB18_141
.LBB18_120:                             ;   in Loop: Header=BB18_115 Depth=1
	s_waitcnt lgkmcnt(0)
	v_cmp_gt_f32_e32 vcc, 0, v8
	s_nop 1
	v_cndmask_b32_e64 v6, v8, -v8, vcc
	v_cmp_gt_f32_e32 vcc, 0, v9
	s_nop 1
	v_cndmask_b32_e64 v7, v9, -v9, vcc
	v_cmp_ngt_f32_e32 vcc, v6, v7
	s_cbranch_vccz .LBB18_123
; %bb.121:                              ;   in Loop: Header=BB18_115 Depth=1
	v_cmp_eq_f32_e32 vcc, 0, v9
	s_cbranch_vccnz .LBB18_140
; %bb.122:                              ;   in Loop: Header=BB18_115 Depth=1
	v_div_scale_f32 v10, s[0:1], v7, v7, v6
	v_rcp_f32_e32 v11, v10
	v_div_scale_f32 v12, vcc, v6, v7, v6
	v_fma_f32 v13, -v10, v11, 1.0
	v_fmac_f32_e32 v11, v13, v11
	v_mul_f32_e32 v13, v12, v11
	v_fma_f32 v14, -v10, v13, v12
	v_fmac_f32_e32 v13, v14, v11
	v_fma_f32 v10, -v10, v13, v12
	v_div_fmas_f32 v10, v10, v11, v13
	v_div_fixup_f32 v10, v10, v7, v6
	v_fma_f32 v10, v10, v10, 1.0
	v_mul_f32_e32 v11, 0x4f800000, v10
	v_cmp_gt_f32_e32 vcc, s16, v10
	s_nop 1
	v_cndmask_b32_e32 v10, v10, v11, vcc
	v_sqrt_f32_e32 v11, v10
	s_nop 0
	v_add_u32_e32 v12, -1, v11
	v_fma_f32 v13, -v12, v11, v10
	v_cmp_ge_f32_e64 s[0:1], 0, v13
	v_add_u32_e32 v13, 1, v11
	s_nop 0
	v_cndmask_b32_e64 v12, v11, v12, s[0:1]
	v_fma_f32 v11, -v13, v11, v10
	v_cmp_lt_f32_e64 s[0:1], 0, v11
	s_nop 1
	v_cndmask_b32_e64 v11, v12, v13, s[0:1]
	v_mul_f32_e32 v12, 0x37800000, v11
	v_cndmask_b32_e32 v11, v11, v12, vcc
	v_cmp_class_f32_e32 vcc, v10, v18
	s_nop 1
	v_cndmask_b32_e32 v10, v11, v10, vcc
	v_mul_f32_e32 v10, v7, v10
	s_cbranch_execz .LBB18_124
	s_branch .LBB18_125
.LBB18_123:                             ;   in Loop: Header=BB18_115 Depth=1
                                        ; implicit-def: $vgpr10
.LBB18_124:                             ;   in Loop: Header=BB18_115 Depth=1
	v_div_scale_f32 v10, s[0:1], v6, v6, v7
	v_rcp_f32_e32 v11, v10
	v_div_scale_f32 v12, vcc, v7, v6, v7
	v_fma_f32 v13, -v10, v11, 1.0
	v_fmac_f32_e32 v11, v13, v11
	v_mul_f32_e32 v13, v12, v11
	v_fma_f32 v14, -v10, v13, v12
	v_fmac_f32_e32 v13, v14, v11
	v_fma_f32 v10, -v10, v13, v12
	v_div_fmas_f32 v10, v10, v11, v13
	v_div_fixup_f32 v7, v10, v6, v7
	v_fma_f32 v7, v7, v7, 1.0
	v_mul_f32_e32 v10, 0x4f800000, v7
	v_cmp_gt_f32_e32 vcc, s16, v7
	s_nop 1
	v_cndmask_b32_e32 v7, v7, v10, vcc
	v_sqrt_f32_e32 v10, v7
	s_nop 0
	v_add_u32_e32 v11, -1, v10
	v_fma_f32 v12, -v11, v10, v7
	v_cmp_ge_f32_e64 s[0:1], 0, v12
	v_add_u32_e32 v12, 1, v10
	s_nop 0
	v_cndmask_b32_e64 v11, v10, v11, s[0:1]
	v_fma_f32 v10, -v12, v10, v7
	v_cmp_lt_f32_e64 s[0:1], 0, v10
	s_nop 1
	v_cndmask_b32_e64 v10, v11, v12, s[0:1]
	v_mul_f32_e32 v11, 0x37800000, v10
	v_cndmask_b32_e32 v10, v10, v11, vcc
	v_cmp_class_f32_e32 vcc, v7, v18
	s_nop 1
	v_cndmask_b32_e32 v7, v10, v7, vcc
	v_mul_f32_e32 v10, v6, v7
.LBB18_125:                             ;   in Loop: Header=BB18_115 Depth=1
	v_cvt_f64_f32_e32 v[6:7], v10
	v_mov_b32_e32 v10, s67
	v_cmp_ge_f64_e32 vcc, v[2:3], v[6:7]
	v_mov_b32_e32 v7, s66
	s_nop 0
	v_cndmask_b32_e32 v6, v9, v10, vcc
	v_cndmask_b32_e32 v7, v8, v7, vcc
	s_and_saveexec_b64 s[0:1], s[4:5]
; %bb.126:                              ;   in Loop: Header=BB18_115 Depth=1
	v_mov_b32_e32 v10, v7
	v_mov_b32_e32 v11, v6
	;; [unrolled: 1-line block ×3, first 2 shown]
	ds_write_b64 v12, v[10:11]
; %bb.127:                              ;   in Loop: Header=BB18_115 Depth=1
	s_or_b64 exec, exec, s[0:1]
	s_mov_b64 s[0:1], -1
	s_branch .LBB18_117
.LBB18_128:                             ;   in Loop: Header=BB18_115 Depth=1
	s_waitcnt lgkmcnt(0)
	v_mov_b32_e32 v7, v8
	v_or_b32_e32 v8, v8, v9
	v_and_b32_e32 v8, 0x7fffffff, v8
	v_mov_b32_e32 v6, v9
	v_cmp_ne_u32_e64 s[0:1], 0, v8
	s_mov_b64 s[8:9], -1
	s_andn2_b64 vcc, exec, s[0:1]
                                        ; implicit-def: $sgpr19
	s_cbranch_vccnz .LBB18_118
.LBB18_129:                             ;   in Loop: Header=BB18_115 Depth=1
	s_add_i32 s19, s17, 1
	v_add_u32_e32 v19, s19, v4
	v_cmp_gt_i32_e32 vcc, s23, v19
	s_and_saveexec_b64 s[8:9], vcc
	s_cbranch_execz .LBB18_137
; %bb.130:                              ;   in Loop: Header=BB18_115 Depth=1
	s_waitcnt lgkmcnt(0)
	v_mul_f32_e32 v8, v6, v6
	v_fmac_f32_e32 v8, v7, v7
	v_div_scale_f32 v9, s[0:1], v8, v8, 1.0
	v_rcp_f32_e32 v10, v9
	v_div_scale_f32 v11, vcc, 1.0, v8, 1.0
	v_add_u32_e32 v20, s19, v1
	v_fma_f32 v12, -v9, v10, 1.0
	v_fmac_f32_e32 v10, v12, v10
	v_mul_f32_e32 v12, v11, v10
	v_fma_f32 v13, -v9, v12, v11
	v_fmac_f32_e32 v12, v13, v10
	v_fma_f32 v9, -v9, v12, v11
	v_div_fmas_f32 v9, v9, v10, v12
	v_div_fixup_f32 v8, v9, v8, 1.0
	v_cmp_gt_i32_e32 vcc, s23, v20
	v_mov_b32_e32 v9, v8
	v_mov_b32_e32 v10, v6
	;; [unrolled: 1-line block ×4, first 2 shown]
	s_mov_b64 s[10:11], 0
	v_mov_b32_e32 v21, v16
	s_branch .LBB18_132
.LBB18_131:                             ;   in Loop: Header=BB18_132 Depth=2
	s_or_b64 exec, exec, s[12:13]
	v_add_u32_e32 v19, 32, v19
	v_cmp_le_i32_e64 s[0:1], s23, v19
	s_or_b64 s[10:11], s[0:1], s[10:11]
	v_add_u32_e32 v21, 0x100, v21
	s_andn2_b64 exec, exec, s[10:11]
	s_cbranch_execz .LBB18_137
.LBB18_132:                             ;   Parent Loop BB18_115 Depth=1
                                        ; =>  This Loop Header: Depth=2
                                        ;       Child Loop BB18_136 Depth 3
	v_lshl_add_u32 v14, v19, 3, s18
	ds_read_b64 v[12:13], v14
	s_waitcnt lgkmcnt(0)
	v_xor_b32_e32 v23, 0x80000000, v12
	v_mov_b32_e32 v22, v13
	v_pk_mul_f32 v[22:23], v[10:11], v[22:23]
	s_nop 0
	v_pk_fma_f32 v[12:13], v[12:13], v[6:7], v[22:23]
	s_nop 0
	v_pk_mul_f32 v[12:13], v[8:9], v[12:13]
	s_and_saveexec_b64 s[0:1], s[6:7]
; %bb.133:                              ;   in Loop: Header=BB18_132 Depth=2
	ds_write_b64 v14, v[12:13]
; %bb.134:                              ;   in Loop: Header=BB18_132 Depth=2
	s_or_b64 exec, exec, s[0:1]
	s_and_saveexec_b64 s[12:13], vcc
	s_cbranch_execz .LBB18_131
; %bb.135:                              ;   in Loop: Header=BB18_132 Depth=2
	v_pk_add_f32 v[14:15], v[12:13], 0 neg_lo:[1,1] neg_hi:[1,1]
	s_mov_b64 s[14:15], 0
	v_pk_mov_b32 v[14:15], v[12:13], v[14:15] op_sel:[1,0]
	v_mov_b32_e32 v22, v17
	v_mov_b32_e32 v23, v21
	;; [unrolled: 1-line block ×3, first 2 shown]
.LBB18_136:                             ;   Parent Loop BB18_115 Depth=1
                                        ;     Parent Loop BB18_132 Depth=2
                                        ; =>    This Inner Loop Header: Depth=3
	ds_read_b64 v[26:27], v22
	ds_read_b64 v[28:29], v23
	v_add_u32_e32 v24, 2, v24
	v_cmp_le_i32_e64 s[0:1], s23, v24
	s_or_b64 s[14:15], s[0:1], s[14:15]
	v_add_u32_e32 v22, 0x210, v22
	s_waitcnt lgkmcnt(0)
	v_pk_fma_f32 v[28:29], v[12:13], v[26:27], v[28:29] op_sel_hi:[1,0,1] neg_lo:[1,0,0] neg_hi:[1,0,0]
	s_nop 0
	v_pk_fma_f32 v[26:27], v[14:15], v[26:27], v[28:29] op_sel:[0,1,0]
	ds_write_b64 v23, v[26:27]
	v_add_u32_e32 v23, 0x210, v23
	s_andn2_b64 exec, exec, s[14:15]
	s_cbranch_execnz .LBB18_136
	s_branch .LBB18_131
.LBB18_137:                             ;   in Loop: Header=BB18_115 Depth=1
	s_or_b64 exec, exec, s[8:9]
	s_cbranch_execnz .LBB18_119
.LBB18_138:                             ;   in Loop: Header=BB18_115 Depth=1
	s_add_i32 s19, s17, 1
	s_mov_b64 s[44:45], -1
	v_add_u32_e32 v16, 0x110, v16
	s_cmp_eq_u32 s19, s23
	v_add_u32_e32 v17, 0x110, v17
	s_cbranch_scc1 .LBB18_141
.LBB18_139:                             ;   in Loop: Header=BB18_115 Depth=1
	s_mov_b32 s17, s19
	s_branch .LBB18_115
.LBB18_140:                             ;   in Loop: Header=BB18_115 Depth=1
	v_mov_b32_e32 v10, 0
	s_cbranch_execz .LBB18_124
	s_branch .LBB18_125
.LBB18_141:
	s_waitcnt lgkmcnt(0)
	s_and_saveexec_b64 s[4:5], s[2:3]
	s_cbranch_execz .LBB18_151
; %bb.142:
	s_mul_i32 s14, s46, s23
	v_bfe_u32 v1, v0, 10, 10
	s_cmp_lg_u32 s48, 0
	v_add_u32_e32 v2, s14, v4
	s_movk_i32 s6, 0x108
	v_cmp_gt_u32_e64 s[0:1], s23, v1
	s_cselect_b64 s[2:3], -1, 0
	v_mul_lo_u32 v6, s23, v2
	s_lshl_b32 s15, s23, 5
	v_mad_u32_u24 v5, v1, s6, v5
	s_mov_b64 s[6:7], 0
	s_branch .LBB18_144
.LBB18_143:                             ;   in Loop: Header=BB18_144 Depth=1
	s_or_b64 exec, exec, s[8:9]
	v_add_u32_e32 v4, 32, v4
	v_cmp_le_i32_e32 vcc, s23, v4
	v_add_u32_e32 v6, s15, v6
	s_or_b64 s[6:7], vcc, s[6:7]
	v_add_u32_e32 v5, 0x100, v5
	s_andn2_b64 exec, exec, s[6:7]
	s_cbranch_execz .LBB18_151
.LBB18_144:                             ; =>This Loop Header: Depth=1
                                        ;     Child Loop BB18_147 Depth 2
	s_and_saveexec_b64 s[8:9], s[0:1]
	s_cbranch_execz .LBB18_143
; %bb.145:                              ;   in Loop: Header=BB18_144 Depth=1
	s_mov_b64 s[10:11], 0
	v_mov_b32_e32 v7, v5
	v_mov_b32_e32 v8, v1
	s_branch .LBB18_147
.LBB18_146:                             ;   in Loop: Header=BB18_147 Depth=2
	ds_read_b64 v[10:11], v7
	v_add_u32_e32 v8, 2, v8
	v_ashrrev_i32_e32 v3, 31, v2
	v_cmp_le_i32_e32 vcc, s23, v8
	v_lshl_add_u64 v[2:3], v[2:3], 3, s[28:29]
	s_or_b64 s[10:11], vcc, s[10:11]
	v_add_u32_e32 v7, 0x210, v7
	s_waitcnt lgkmcnt(0)
	global_store_dwordx2 v[2:3], v[10:11], off
	s_andn2_b64 exec, exec, s[10:11]
	s_cbranch_execz .LBB18_143
.LBB18_147:                             ;   Parent Loop BB18_144 Depth=1
                                        ; =>  This Inner Loop Header: Depth=2
	s_and_b64 vcc, exec, s[2:3]
	s_cbranch_vccz .LBB18_149
; %bb.148:                              ;   in Loop: Header=BB18_147 Depth=2
	v_add_u32_e32 v2, s14, v8
	v_mad_u64_u32 v[2:3], s[12:13], v2, s23, v[4:5]
	s_cbranch_execnz .LBB18_146
	s_branch .LBB18_150
.LBB18_149:                             ;   in Loop: Header=BB18_147 Depth=2
                                        ; implicit-def: $vgpr2
.LBB18_150:                             ;   in Loop: Header=BB18_147 Depth=2
	v_add_u32_e32 v2, v6, v8
	s_branch .LBB18_146
.LBB18_151:
	s_or_b64 exec, exec, s[4:5]
.LBB18_152:
	s_add_i32 s30, s46, 1
	s_cmp_ge_i32 s30, s33
	s_cbranch_scc1 .LBB18_204
; %bb.153:
	v_and_b32_e32 v1, 0x3ff, v0
	s_mul_i32 s12, s23, s30
	v_bfe_u32 v3, v0, 10, 10
	s_cmp_lg_u32 s48, 0
	v_add_u32_e32 v2, s12, v1
	s_cselect_b64 s[14:15], -1, 0
	s_cmp_gt_i32 s23, 0
	v_mul_lo_u32 v7, s23, v2
	v_mul_u32_u24_e32 v2, 0x108, v3
	v_lshlrev_b32_e32 v4, 3, v1
	s_movk_i32 s12, 0x2100
	s_cselect_b64 s[6:7], -1, 0
	s_cmp_lg_u32 s23, 1
	s_movk_i32 s39, 0x108
	v_add3_u32 v8, v2, v4, s12
	v_lshlrev_b32_e32 v2, 3, v3
	s_cselect_b64 s[8:9], -1, 0
	s_and_b32 s31, s23, 0x7ffffffe
	v_mad_u32_u24 v4, v1, s39, v2
	v_add_u32_e32 v10, 8, v2
	v_add_u32_e32 v11, 0x118, v2
	v_mov_b32_e32 v2, 0x2108
	s_bitcmp1_b32 s23, 0
	v_mad_u32_u24 v13, v1, s39, v2
	v_cndmask_b32_e64 v2, 0, 1, s[6:7]
	s_cselect_b64 s[10:11], -1, 0
	v_cmp_ne_u32_e64 s[6:7], 1, v2
	v_cndmask_b32_e64 v2, 0, 1, s[8:9]
	v_cmp_ne_u32_e64 s[8:9], 1, v2
	v_cndmask_b32_e64 v2, 0, 1, s[10:11]
	v_cmp_gt_i32_e64 s[0:1], s23, v1
	v_cmp_le_i32_e64 s[2:3], s23, v1
	v_cmp_gt_i32_e64 s[4:5], s23, v3
	v_add_u32_e32 v6, 1, v3
	s_mul_i32 s36, s23, s23
	s_lshl_b32 s37, s23, 5
	v_add_u32_e32 v9, 0x2108, v4
	v_add_u32_e32 v12, 0x2110, v4
	v_cmp_ne_u32_e64 s[10:11], 1, v2
	s_branch .LBB18_156
.LBB18_154:                             ;   in Loop: Header=BB18_156 Depth=1
	s_or_b64 exec, exec, s[16:17]
.LBB18_155:                             ;   in Loop: Header=BB18_156 Depth=1
	s_or_b64 exec, exec, s[12:13]
	s_add_i32 s30, s30, 1
	s_cmp_ge_i32 s30, s33
	v_add_u32_e32 v7, s36, v7
	s_cbranch_scc1 .LBB18_204
.LBB18_156:                             ; =>This Loop Header: Depth=1
                                        ;     Child Loop BB18_159 Depth 2
                                        ;       Child Loop BB18_162 Depth 3
                                        ;     Child Loop BB18_170 Depth 2
                                        ;       Child Loop BB18_173 Depth 3
                                        ;         Child Loop BB18_175 Depth 4
                                        ;       Child Loop BB18_178 Depth 3
                                        ;         Child Loop BB18_180 Depth 4
                                        ;     Child Loop BB18_187 Depth 2
                                        ;       Child Loop BB18_189 Depth 3
                                        ;     Child Loop BB18_197 Depth 2
                                        ;       Child Loop BB18_200 Depth 3
	s_waitcnt lgkmcnt(0)
	s_and_saveexec_b64 s[12:13], s[0:1]
	s_cbranch_execz .LBB18_166
; %bb.157:                              ;   in Loop: Header=BB18_156 Depth=1
	s_mul_i32 s26, s30, s23
	s_mov_b64 s[16:17], 0
	v_mov_b32_e32 v14, v8
	v_mov_b32_e32 v15, v7
	;; [unrolled: 1-line block ×3, first 2 shown]
	s_branch .LBB18_159
.LBB18_158:                             ;   in Loop: Header=BB18_159 Depth=2
	s_or_b64 exec, exec, s[18:19]
	v_add_u32_e32 v2, 32, v2
	v_cmp_le_i32_e32 vcc, s23, v2
	v_add_u32_e32 v15, s37, v15
	s_or_b64 s[16:17], vcc, s[16:17]
	v_add_u32_e32 v14, 0x100, v14
	s_andn2_b64 exec, exec, s[16:17]
	s_cbranch_execz .LBB18_166
.LBB18_159:                             ;   Parent Loop BB18_156 Depth=1
                                        ; =>  This Loop Header: Depth=2
                                        ;       Child Loop BB18_162 Depth 3
	s_and_saveexec_b64 s[18:19], s[4:5]
	s_cbranch_execz .LBB18_158
; %bb.160:                              ;   in Loop: Header=BB18_159 Depth=2
	s_mov_b64 s[20:21], 0
	v_mov_b32_e32 v16, v14
	v_mov_b32_e32 v17, v3
	s_branch .LBB18_162
.LBB18_161:                             ;   in Loop: Header=BB18_162 Depth=3
	v_ashrrev_i32_e32 v5, 31, v4
	v_lshl_add_u64 v[4:5], v[4:5], 3, s[28:29]
	global_load_dwordx2 v[4:5], v[4:5], off
	v_add_u32_e32 v17, 2, v17
	v_cmp_le_i32_e32 vcc, s23, v17
	s_or_b64 s[20:21], vcc, s[20:21]
	s_waitcnt vmcnt(0)
	ds_write_b64 v16, v[4:5]
	v_add_u32_e32 v16, 0x210, v16
	s_andn2_b64 exec, exec, s[20:21]
	s_cbranch_execz .LBB18_158
.LBB18_162:                             ;   Parent Loop BB18_156 Depth=1
                                        ;     Parent Loop BB18_159 Depth=2
                                        ; =>    This Inner Loop Header: Depth=3
	s_and_b64 vcc, exec, s[14:15]
	s_cbranch_vccz .LBB18_164
; %bb.163:                              ;   in Loop: Header=BB18_162 Depth=3
	v_add_u32_e32 v4, s26, v17
	v_mad_u64_u32 v[4:5], s[24:25], v4, s23, v[2:3]
	s_cbranch_execnz .LBB18_161
	s_branch .LBB18_165
.LBB18_164:                             ;   in Loop: Header=BB18_162 Depth=3
                                        ; implicit-def: $vgpr4
.LBB18_165:                             ;   in Loop: Header=BB18_162 Depth=3
	v_add_u32_e32 v4, v15, v17
	s_branch .LBB18_161
.LBB18_166:                             ;   in Loop: Header=BB18_156 Depth=1
	s_or_b64 exec, exec, s[12:13]
	s_and_b64 vcc, exec, s[6:7]
	s_waitcnt lgkmcnt(0)
	s_cbranch_vccnz .LBB18_190
; %bb.167:                              ;   in Loop: Header=BB18_156 Depth=1
	s_and_b64 vcc, exec, s[8:9]
	s_mov_b32 s20, 0
	s_cbranch_vccnz .LBB18_181
; %bb.168:                              ;   in Loop: Header=BB18_156 Depth=1
	s_mov_b32 s26, 0
	v_mov_b32_e32 v2, v12
	v_mov_b32_e32 v4, v11
	;; [unrolled: 1-line block ×4, first 2 shown]
	s_branch .LBB18_170
.LBB18_169:                             ;   in Loop: Header=BB18_170 Depth=2
	s_or_b64 exec, exec, s[16:17]
	s_add_i32 s26, s26, 2
	v_add_u32_e32 v14, 16, v14
	v_add_u32_e32 v5, 0x220, v5
	;; [unrolled: 1-line block ×4, first 2 shown]
	s_cmp_eq_u32 s26, s31
	s_mov_b32 s20, s31
	s_cbranch_scc1 .LBB18_181
.LBB18_170:                             ;   Parent Loop BB18_156 Depth=1
                                        ; =>  This Loop Header: Depth=2
                                        ;       Child Loop BB18_173 Depth 3
                                        ;         Child Loop BB18_175 Depth 4
                                        ;       Child Loop BB18_178 Depth 3
                                        ;         Child Loop BB18_180 Depth 4
	s_and_saveexec_b64 s[16:17], s[0:1]
	s_cbranch_execz .LBB18_169
; %bb.171:                              ;   in Loop: Header=BB18_170 Depth=2
	v_add_u32_e32 v15, s26, v6
	s_lshl_b32 s27, s26, 3
	v_cmp_gt_i32_e32 vcc, s23, v15
	s_mov_b64 s[18:19], 0
	s_addk_i32 s27, 0x2100
	v_mov_b32_e32 v16, v14
	v_mov_b32_e32 v17, v1
	s_branch .LBB18_173
.LBB18_172:                             ;   in Loop: Header=BB18_173 Depth=3
	s_or_b64 exec, exec, s[20:21]
	v_add_u32_e32 v17, 32, v17
	v_cmp_le_i32_e64 s[12:13], s23, v17
	s_or_b64 s[18:19], s[12:13], s[18:19]
	v_add_u32_e32 v16, 0x2100, v16
	s_andn2_b64 exec, exec, s[18:19]
	s_cbranch_execz .LBB18_176
.LBB18_173:                             ;   Parent Loop BB18_156 Depth=1
                                        ;     Parent Loop BB18_170 Depth=2
                                        ; =>    This Loop Header: Depth=3
                                        ;         Child Loop BB18_175 Depth 4
	s_and_saveexec_b64 s[20:21], vcc
	s_cbranch_execz .LBB18_172
; %bb.174:                              ;   in Loop: Header=BB18_173 Depth=3
	v_mul_lo_u32 v18, v17, s39
	v_add_u32_e32 v18, s27, v18
	s_mov_b64 s[24:25], 0
	v_mov_b32_e32 v19, v5
	v_mov_b32_e32 v20, v16
	;; [unrolled: 1-line block ×3, first 2 shown]
.LBB18_175:                             ;   Parent Loop BB18_156 Depth=1
                                        ;     Parent Loop BB18_170 Depth=2
                                        ;       Parent Loop BB18_173 Depth=3
                                        ; =>      This Inner Loop Header: Depth=4
	ds_read_b64 v[22:23], v18
	ds_read_b64 v[24:25], v19
	;; [unrolled: 1-line block ×3, first 2 shown]
	v_add_u32_e32 v21, 2, v21
	v_cmp_le_i32_e64 s[12:13], s23, v21
	s_or_b64 s[24:25], s[12:13], s[24:25]
	s_waitcnt lgkmcnt(1)
	v_pk_add_f32 v[28:29], v[24:25], 0 neg_lo:[1,1] neg_hi:[1,1]
	s_waitcnt lgkmcnt(0)
	v_pk_fma_f32 v[26:27], v[24:25], v[22:23], v[26:27] op_sel_hi:[1,0,1] neg_lo:[1,0,0] neg_hi:[1,0,0]
	v_pk_mov_b32 v[24:25], v[24:25], v[28:29] op_sel:[1,0]
	v_add_u32_e32 v19, 16, v19
	v_pk_fma_f32 v[22:23], v[24:25], v[22:23], v[26:27] op_sel:[0,1,0]
	ds_write_b64 v20, v[22:23]
	v_add_u32_e32 v20, 16, v20
	s_andn2_b64 exec, exec, s[24:25]
	s_cbranch_execnz .LBB18_175
	s_branch .LBB18_172
.LBB18_176:                             ;   in Loop: Header=BB18_170 Depth=2
	s_or_b64 exec, exec, s[18:19]
	v_add3_u32 v15, v6, s26, 1
	v_cmp_gt_i32_e32 vcc, s23, v15
	s_mov_b64 s[18:19], 0
	v_mov_b32_e32 v16, v2
	v_mov_b32_e32 v17, v1
	s_branch .LBB18_178
.LBB18_177:                             ;   in Loop: Header=BB18_178 Depth=3
	s_or_b64 exec, exec, s[20:21]
	v_add_u32_e32 v17, 32, v17
	v_cmp_le_i32_e64 s[12:13], s23, v17
	s_or_b64 s[18:19], s[12:13], s[18:19]
	v_add_u32_e32 v16, 0x2100, v16
	s_andn2_b64 exec, exec, s[18:19]
	s_cbranch_execz .LBB18_169
.LBB18_178:                             ;   Parent Loop BB18_156 Depth=1
                                        ;     Parent Loop BB18_170 Depth=2
                                        ; =>    This Loop Header: Depth=3
                                        ;         Child Loop BB18_180 Depth 4
	s_and_saveexec_b64 s[20:21], vcc
	s_cbranch_execz .LBB18_177
; %bb.179:                              ;   in Loop: Header=BB18_178 Depth=3
	v_mul_lo_u32 v18, v17, s39
	v_add_u32_e32 v18, s27, v18
	s_mov_b64 s[24:25], 0
	v_mov_b32_e32 v19, v16
	v_mov_b32_e32 v20, v4
	;; [unrolled: 1-line block ×3, first 2 shown]
.LBB18_180:                             ;   Parent Loop BB18_156 Depth=1
                                        ;     Parent Loop BB18_170 Depth=2
                                        ;       Parent Loop BB18_178 Depth=3
                                        ; =>      This Inner Loop Header: Depth=4
	ds_read_b64 v[22:23], v18 offset:8
	ds_read_b64 v[24:25], v20
	ds_read_b64 v[26:27], v19
	v_add_u32_e32 v21, 2, v21
	v_cmp_le_i32_e64 s[12:13], s23, v21
	v_add_u32_e32 v20, 16, v20
	s_waitcnt lgkmcnt(1)
	v_pk_add_f32 v[28:29], v[24:25], 0 neg_lo:[1,1] neg_hi:[1,1]
	s_waitcnt lgkmcnt(0)
	v_pk_fma_f32 v[26:27], v[24:25], v[22:23], v[26:27] op_sel_hi:[1,0,1] neg_lo:[1,0,0] neg_hi:[1,0,0]
	v_pk_mov_b32 v[24:25], v[24:25], v[28:29] op_sel:[1,0]
	s_or_b64 s[24:25], s[12:13], s[24:25]
	v_pk_fma_f32 v[22:23], v[24:25], v[22:23], v[26:27] op_sel:[0,1,0]
	ds_write_b64 v19, v[22:23]
	v_add_u32_e32 v19, 16, v19
	s_andn2_b64 exec, exec, s[24:25]
	s_cbranch_execnz .LBB18_180
	s_branch .LBB18_177
.LBB18_181:                             ;   in Loop: Header=BB18_156 Depth=1
	s_and_b64 vcc, exec, s[10:11]
	s_mov_b64 s[12:13], -1
	s_cbranch_vccnz .LBB18_191
; %bb.182:                              ;   in Loop: Header=BB18_156 Depth=1
	s_and_saveexec_b64 s[12:13], s[2:3]
	s_xor_b64 s[12:13], exec, s[12:13]
	s_cbranch_execz .LBB18_184
; %bb.183:                              ;   in Loop: Header=BB18_156 Depth=1
	s_waitcnt lgkmcnt(0)
.LBB18_184:                             ;   in Loop: Header=BB18_156 Depth=1
	s_or_saveexec_b64 s[16:17], s[12:13]
	s_mov_b64 s[12:13], 0
	s_xor_b64 exec, exec, s[16:17]
	s_cbranch_execz .LBB18_193
; %bb.185:                              ;   in Loop: Header=BB18_156 Depth=1
	v_add_u32_e32 v2, s20, v6
	v_add_u32_e32 v4, s20, v3
	s_mul_i32 s12, s20, 0x110
	s_lshl_b32 s26, s20, 3
	v_cmp_gt_i32_e32 vcc, s23, v2
	v_lshl_add_u32 v4, v4, 3, v13
	v_add_u32_e32 v5, s12, v10
	s_mov_b64 s[18:19], 0
	s_addk_i32 s26, 0x2100
	v_mov_b32_e32 v14, v1
	s_branch .LBB18_187
.LBB18_186:                             ;   in Loop: Header=BB18_187 Depth=2
	s_or_b64 exec, exec, s[20:21]
	v_add_u32_e32 v14, 32, v14
	v_cmp_le_i32_e64 s[12:13], s23, v14
	s_or_b64 s[18:19], s[12:13], s[18:19]
	v_add_u32_e32 v4, 0x2100, v4
	s_andn2_b64 exec, exec, s[18:19]
	s_cbranch_execz .LBB18_192
.LBB18_187:                             ;   Parent Loop BB18_156 Depth=1
                                        ; =>  This Loop Header: Depth=2
                                        ;       Child Loop BB18_189 Depth 3
	s_and_saveexec_b64 s[20:21], vcc
	s_cbranch_execz .LBB18_186
; %bb.188:                              ;   in Loop: Header=BB18_187 Depth=2
	v_mul_lo_u32 v15, v14, s39
	v_add_u32_e32 v15, s26, v15
	s_mov_b64 s[24:25], 0
	v_mov_b32_e32 v16, v5
	v_mov_b32_e32 v17, v4
	;; [unrolled: 1-line block ×3, first 2 shown]
.LBB18_189:                             ;   Parent Loop BB18_156 Depth=1
                                        ;     Parent Loop BB18_187 Depth=2
                                        ; =>    This Inner Loop Header: Depth=3
	ds_read_b64 v[20:21], v15
	ds_read_b64 v[22:23], v16
	;; [unrolled: 1-line block ×3, first 2 shown]
	v_add_u32_e32 v18, 2, v18
	v_cmp_le_i32_e64 s[12:13], s23, v18
	s_or_b64 s[24:25], s[12:13], s[24:25]
	s_waitcnt lgkmcnt(1)
	v_pk_add_f32 v[26:27], v[22:23], 0 neg_lo:[1,1] neg_hi:[1,1]
	s_waitcnt lgkmcnt(0)
	v_pk_fma_f32 v[24:25], v[22:23], v[20:21], v[24:25] op_sel_hi:[1,0,1] neg_lo:[1,0,0] neg_hi:[1,0,0]
	v_pk_mov_b32 v[22:23], v[22:23], v[26:27] op_sel:[1,0]
	v_add_u32_e32 v16, 16, v16
	v_pk_fma_f32 v[20:21], v[22:23], v[20:21], v[24:25] op_sel:[0,1,0]
	ds_write_b64 v17, v[20:21]
	v_add_u32_e32 v17, 16, v17
	s_andn2_b64 exec, exec, s[24:25]
	s_cbranch_execnz .LBB18_189
	s_branch .LBB18_186
.LBB18_190:                             ;   in Loop: Header=BB18_156 Depth=1
	s_mov_b64 s[12:13], -1
.LBB18_191:                             ;   in Loop: Header=BB18_156 Depth=1
	s_and_saveexec_b64 s[16:17], s[12:13]
	s_xor_b64 s[12:13], exec, s[16:17]
	s_cbranch_execz .LBB18_155
	s_branch .LBB18_194
.LBB18_192:                             ;   in Loop: Header=BB18_156 Depth=1
	s_or_b64 exec, exec, s[18:19]
	s_mov_b64 s[12:13], exec
.LBB18_193:                             ;   in Loop: Header=BB18_156 Depth=1
	s_or_b64 exec, exec, s[16:17]
	s_and_saveexec_b64 s[16:17], s[12:13]
	s_xor_b64 s[12:13], exec, s[16:17]
	s_cbranch_execz .LBB18_155
.LBB18_194:                             ;   in Loop: Header=BB18_156 Depth=1
	s_waitcnt lgkmcnt(0)
	s_and_saveexec_b64 s[16:17], s[0:1]
	s_cbranch_execz .LBB18_154
; %bb.195:                              ;   in Loop: Header=BB18_156 Depth=1
	s_mul_i32 s46, s30, s23
	s_mov_b64 s[18:19], 0
	v_mov_b32_e32 v14, v8
	v_mov_b32_e32 v15, v7
	;; [unrolled: 1-line block ×3, first 2 shown]
	s_branch .LBB18_197
.LBB18_196:                             ;   in Loop: Header=BB18_197 Depth=2
	s_or_b64 exec, exec, s[20:21]
	v_add_u32_e32 v2, 32, v2
	v_cmp_le_i32_e32 vcc, s23, v2
	v_add_u32_e32 v15, s37, v15
	s_or_b64 s[18:19], vcc, s[18:19]
	v_add_u32_e32 v14, 0x100, v14
	s_andn2_b64 exec, exec, s[18:19]
	s_cbranch_execz .LBB18_154
.LBB18_197:                             ;   Parent Loop BB18_156 Depth=1
                                        ; =>  This Loop Header: Depth=2
                                        ;       Child Loop BB18_200 Depth 3
	s_and_saveexec_b64 s[20:21], s[4:5]
	s_cbranch_execz .LBB18_196
; %bb.198:                              ;   in Loop: Header=BB18_197 Depth=2
	s_mov_b64 s[24:25], 0
	v_mov_b32_e32 v16, v14
	v_mov_b32_e32 v17, v3
	s_branch .LBB18_200
.LBB18_199:                             ;   in Loop: Header=BB18_200 Depth=3
	ds_read_b64 v[18:19], v16
	v_add_u32_e32 v17, 2, v17
	v_ashrrev_i32_e32 v5, 31, v4
	v_cmp_le_i32_e32 vcc, s23, v17
	v_lshl_add_u64 v[4:5], v[4:5], 3, s[28:29]
	s_or_b64 s[24:25], vcc, s[24:25]
	v_add_u32_e32 v16, 0x210, v16
	s_waitcnt lgkmcnt(0)
	global_store_dwordx2 v[4:5], v[18:19], off
	s_andn2_b64 exec, exec, s[24:25]
	s_cbranch_execz .LBB18_196
.LBB18_200:                             ;   Parent Loop BB18_156 Depth=1
                                        ;     Parent Loop BB18_197 Depth=2
                                        ; =>    This Inner Loop Header: Depth=3
	s_and_b64 vcc, exec, s[14:15]
	s_cbranch_vccz .LBB18_202
; %bb.201:                              ;   in Loop: Header=BB18_200 Depth=3
	v_add_u32_e32 v4, s46, v17
	v_mad_u64_u32 v[4:5], s[26:27], v4, s23, v[2:3]
	s_cbranch_execnz .LBB18_199
	s_branch .LBB18_203
.LBB18_202:                             ;   in Loop: Header=BB18_200 Depth=3
                                        ; implicit-def: $vgpr4
.LBB18_203:                             ;   in Loop: Header=BB18_200 Depth=3
	v_add_u32_e32 v4, v15, v17
	s_branch .LBB18_199
.LBB18_204:
	v_and_b32_e32 v0, 0xfffff, v0
	v_cmp_eq_u32_e32 vcc, 0, v0
	s_and_saveexec_b64 s[0:1], vcc
	s_cbranch_execz .LBB18_208
; %bb.205:
	s_add_u32 s0, s40, s42
	s_addc_u32 s1, s41, s43
	v_mov_b32_e32 v0, 0
	v_mov_b32_e32 v1, 1
	s_andn2_b64 vcc, exec, s[44:45]
	buffer_wbl2 sc1
	s_waitcnt vmcnt(0) lgkmcnt(0)
	global_store_dword v0, v1, s[0:1] sc1
	s_cbranch_vccnz .LBB18_208
; %bb.206:
	v_mbcnt_lo_u32_b32 v0, exec_lo, 0
	v_mbcnt_hi_u32_b32 v0, exec_hi, v0
	v_cmp_eq_u32_e32 vcc, 0, v0
	s_and_b64 exec, exec, vcc
	s_cbranch_execz .LBB18_208
; %bb.207:
	s_add_i32 s0, s38, s22
	v_mov_b32_e32 v0, 0
	v_mov_b32_e32 v1, s0
	global_atomic_smin v0, v1, s[34:35]
.LBB18_208:
	s_endpgm
	.section	.rodata,"a",@progbits
	.p2align	6, 0x0
	.amdhsa_kernel _ZN9rocsparseL12bsrilu0_9_32ILj64ELj64ELj32E21rocsparse_complex_numIfEEEv20rocsparse_direction_iPKiS5_PT2_S5_iPiS5_S8_21rocsparse_index_base_imNS_24const_host_device_scalarIfEENSA_IdEENSA_IS6_EEb
		.amdhsa_group_segment_fixed_size 16896
		.amdhsa_private_segment_fixed_size 0
		.amdhsa_kernarg_size 116
		.amdhsa_user_sgpr_count 2
		.amdhsa_user_sgpr_dispatch_ptr 0
		.amdhsa_user_sgpr_queue_ptr 0
		.amdhsa_user_sgpr_kernarg_segment_ptr 1
		.amdhsa_user_sgpr_dispatch_id 0
		.amdhsa_user_sgpr_kernarg_preload_length 0
		.amdhsa_user_sgpr_kernarg_preload_offset 0
		.amdhsa_user_sgpr_private_segment_size 0
		.amdhsa_uses_dynamic_stack 0
		.amdhsa_enable_private_segment 0
		.amdhsa_system_sgpr_workgroup_id_x 1
		.amdhsa_system_sgpr_workgroup_id_y 0
		.amdhsa_system_sgpr_workgroup_id_z 0
		.amdhsa_system_sgpr_workgroup_info 0
		.amdhsa_system_vgpr_workitem_id 1
		.amdhsa_next_free_vgpr 129
		.amdhsa_next_free_sgpr 96
		.amdhsa_accum_offset 64
		.amdhsa_reserve_vcc 1
		.amdhsa_float_round_mode_32 0
		.amdhsa_float_round_mode_16_64 0
		.amdhsa_float_denorm_mode_32 3
		.amdhsa_float_denorm_mode_16_64 3
		.amdhsa_dx10_clamp 1
		.amdhsa_ieee_mode 1
		.amdhsa_fp16_overflow 0
		.amdhsa_tg_split 0
		.amdhsa_exception_fp_ieee_invalid_op 0
		.amdhsa_exception_fp_denorm_src 0
		.amdhsa_exception_fp_ieee_div_zero 0
		.amdhsa_exception_fp_ieee_overflow 0
		.amdhsa_exception_fp_ieee_underflow 0
		.amdhsa_exception_fp_ieee_inexact 0
		.amdhsa_exception_int_div_zero 0
	.end_amdhsa_kernel
	.section	.text._ZN9rocsparseL12bsrilu0_9_32ILj64ELj64ELj32E21rocsparse_complex_numIfEEEv20rocsparse_direction_iPKiS5_PT2_S5_iPiS5_S8_21rocsparse_index_base_imNS_24const_host_device_scalarIfEENSA_IdEENSA_IS6_EEb,"axG",@progbits,_ZN9rocsparseL12bsrilu0_9_32ILj64ELj64ELj32E21rocsparse_complex_numIfEEEv20rocsparse_direction_iPKiS5_PT2_S5_iPiS5_S8_21rocsparse_index_base_imNS_24const_host_device_scalarIfEENSA_IdEENSA_IS6_EEb,comdat
.Lfunc_end18:
	.size	_ZN9rocsparseL12bsrilu0_9_32ILj64ELj64ELj32E21rocsparse_complex_numIfEEEv20rocsparse_direction_iPKiS5_PT2_S5_iPiS5_S8_21rocsparse_index_base_imNS_24const_host_device_scalarIfEENSA_IdEENSA_IS6_EEb, .Lfunc_end18-_ZN9rocsparseL12bsrilu0_9_32ILj64ELj64ELj32E21rocsparse_complex_numIfEEEv20rocsparse_direction_iPKiS5_PT2_S5_iPiS5_S8_21rocsparse_index_base_imNS_24const_host_device_scalarIfEENSA_IdEENSA_IS6_EEb
                                        ; -- End function
	.set _ZN9rocsparseL12bsrilu0_9_32ILj64ELj64ELj32E21rocsparse_complex_numIfEEEv20rocsparse_direction_iPKiS5_PT2_S5_iPiS5_S8_21rocsparse_index_base_imNS_24const_host_device_scalarIfEENSA_IdEENSA_IS6_EEb.num_vgpr, 64
	.set _ZN9rocsparseL12bsrilu0_9_32ILj64ELj64ELj32E21rocsparse_complex_numIfEEEv20rocsparse_direction_iPKiS5_PT2_S5_iPiS5_S8_21rocsparse_index_base_imNS_24const_host_device_scalarIfEENSA_IdEENSA_IS6_EEb.num_agpr, 0
	.set _ZN9rocsparseL12bsrilu0_9_32ILj64ELj64ELj32E21rocsparse_complex_numIfEEEv20rocsparse_direction_iPKiS5_PT2_S5_iPiS5_S8_21rocsparse_index_base_imNS_24const_host_device_scalarIfEENSA_IdEENSA_IS6_EEb.numbered_sgpr, 75
	.set _ZN9rocsparseL12bsrilu0_9_32ILj64ELj64ELj32E21rocsparse_complex_numIfEEEv20rocsparse_direction_iPKiS5_PT2_S5_iPiS5_S8_21rocsparse_index_base_imNS_24const_host_device_scalarIfEENSA_IdEENSA_IS6_EEb.num_named_barrier, 0
	.set _ZN9rocsparseL12bsrilu0_9_32ILj64ELj64ELj32E21rocsparse_complex_numIfEEEv20rocsparse_direction_iPKiS5_PT2_S5_iPiS5_S8_21rocsparse_index_base_imNS_24const_host_device_scalarIfEENSA_IdEENSA_IS6_EEb.private_seg_size, 0
	.set _ZN9rocsparseL12bsrilu0_9_32ILj64ELj64ELj32E21rocsparse_complex_numIfEEEv20rocsparse_direction_iPKiS5_PT2_S5_iPiS5_S8_21rocsparse_index_base_imNS_24const_host_device_scalarIfEENSA_IdEENSA_IS6_EEb.uses_vcc, 1
	.set _ZN9rocsparseL12bsrilu0_9_32ILj64ELj64ELj32E21rocsparse_complex_numIfEEEv20rocsparse_direction_iPKiS5_PT2_S5_iPiS5_S8_21rocsparse_index_base_imNS_24const_host_device_scalarIfEENSA_IdEENSA_IS6_EEb.uses_flat_scratch, 0
	.set _ZN9rocsparseL12bsrilu0_9_32ILj64ELj64ELj32E21rocsparse_complex_numIfEEEv20rocsparse_direction_iPKiS5_PT2_S5_iPiS5_S8_21rocsparse_index_base_imNS_24const_host_device_scalarIfEENSA_IdEENSA_IS6_EEb.has_dyn_sized_stack, 0
	.set _ZN9rocsparseL12bsrilu0_9_32ILj64ELj64ELj32E21rocsparse_complex_numIfEEEv20rocsparse_direction_iPKiS5_PT2_S5_iPiS5_S8_21rocsparse_index_base_imNS_24const_host_device_scalarIfEENSA_IdEENSA_IS6_EEb.has_recursion, 0
	.set _ZN9rocsparseL12bsrilu0_9_32ILj64ELj64ELj32E21rocsparse_complex_numIfEEEv20rocsparse_direction_iPKiS5_PT2_S5_iPiS5_S8_21rocsparse_index_base_imNS_24const_host_device_scalarIfEENSA_IdEENSA_IS6_EEb.has_indirect_call, 0
	.section	.AMDGPU.csdata,"",@progbits
; Kernel info:
; codeLenInByte = 6444
; TotalNumSgprs: 81
; NumVgprs: 64
; NumAgprs: 0
; TotalNumVgprs: 64
; ScratchSize: 0
; MemoryBound: 0
; FloatMode: 240
; IeeeMode: 1
; LDSByteSize: 16896 bytes/workgroup (compile time only)
; SGPRBlocks: 12
; VGPRBlocks: 16
; NumSGPRsForWavesPerEU: 102
; NumVGPRsForWavesPerEU: 129
; AccumOffset: 64
; Occupancy: 3
; WaveLimiterHint : 1
; COMPUTE_PGM_RSRC2:SCRATCH_EN: 0
; COMPUTE_PGM_RSRC2:USER_SGPR: 2
; COMPUTE_PGM_RSRC2:TRAP_HANDLER: 0
; COMPUTE_PGM_RSRC2:TGID_X_EN: 1
; COMPUTE_PGM_RSRC2:TGID_Y_EN: 0
; COMPUTE_PGM_RSRC2:TGID_Z_EN: 0
; COMPUTE_PGM_RSRC2:TIDIG_COMP_CNT: 1
; COMPUTE_PGM_RSRC3_GFX90A:ACCUM_OFFSET: 15
; COMPUTE_PGM_RSRC3_GFX90A:TG_SPLIT: 0
	.section	.text._ZN9rocsparseL13bsrilu0_33_64ILj64ELj64ELj64E21rocsparse_complex_numIfEEEv20rocsparse_direction_iPKiS5_PT2_S5_iPiS5_S8_21rocsparse_index_base_imNS_24const_host_device_scalarIfEENSA_IdEENSA_IS6_EEb,"axG",@progbits,_ZN9rocsparseL13bsrilu0_33_64ILj64ELj64ELj64E21rocsparse_complex_numIfEEEv20rocsparse_direction_iPKiS5_PT2_S5_iPiS5_S8_21rocsparse_index_base_imNS_24const_host_device_scalarIfEENSA_IdEENSA_IS6_EEb,comdat
	.globl	_ZN9rocsparseL13bsrilu0_33_64ILj64ELj64ELj64E21rocsparse_complex_numIfEEEv20rocsparse_direction_iPKiS5_PT2_S5_iPiS5_S8_21rocsparse_index_base_imNS_24const_host_device_scalarIfEENSA_IdEENSA_IS6_EEb ; -- Begin function _ZN9rocsparseL13bsrilu0_33_64ILj64ELj64ELj64E21rocsparse_complex_numIfEEEv20rocsparse_direction_iPKiS5_PT2_S5_iPiS5_S8_21rocsparse_index_base_imNS_24const_host_device_scalarIfEENSA_IdEENSA_IS6_EEb
	.p2align	8
	.type	_ZN9rocsparseL13bsrilu0_33_64ILj64ELj64ELj64E21rocsparse_complex_numIfEEEv20rocsparse_direction_iPKiS5_PT2_S5_iPiS5_S8_21rocsparse_index_base_imNS_24const_host_device_scalarIfEENSA_IdEENSA_IS6_EEb,@function
_ZN9rocsparseL13bsrilu0_33_64ILj64ELj64ELj64E21rocsparse_complex_numIfEEEv20rocsparse_direction_iPKiS5_PT2_S5_iPiS5_S8_21rocsparse_index_base_imNS_24const_host_device_scalarIfEENSA_IdEENSA_IS6_EEb: ; @_ZN9rocsparseL13bsrilu0_33_64ILj64ELj64ELj64E21rocsparse_complex_numIfEEEv20rocsparse_direction_iPKiS5_PT2_S5_iPiS5_S8_21rocsparse_index_base_imNS_24const_host_device_scalarIfEENSA_IdEENSA_IS6_EEb
; %bb.0:
	s_load_dword s3, s[0:1], 0x70
	s_load_dwordx2 s[34:35], s[0:1], 0x48
	s_load_dwordx8 s[36:43], s[0:1], 0x50
	s_waitcnt lgkmcnt(0)
	s_bitcmp1_b32 s3, 0
	s_cselect_b64 s[4:5], -1, 0
	s_cmp_eq_u32 s35, 0
	s_cselect_b64 s[12:13], -1, 0
	s_cmp_lg_u32 s35, 0
	s_cselect_b64 s[6:7], -1, 0
	s_or_b64 s[14:15], s[12:13], s[4:5]
	s_xor_b64 s[8:9], s[14:15], -1
	s_and_b64 s[10:11], s[12:13], exec
	s_cselect_b32 s11, 0, s41
	s_cselect_b32 s10, 0, s40
	s_and_b64 vcc, exec, s[14:15]
	s_cbranch_vccnz .LBB19_2
; %bb.1:
	s_load_dword s3, s[38:39], 0x0
	s_mov_b64 s[10:11], s[40:41]
	s_waitcnt lgkmcnt(0)
	v_mov_b32_e32 v1, s3
	s_andn2_b64 vcc, exec, s[8:9]
	v_mov_b64_e32 v[2:3], s[10:11]
	s_cbranch_vccz .LBB19_3
	s_branch .LBB19_4
.LBB19_2:
	v_mov_b32_e32 v1, s38
	v_cndmask_b32_e64 v1, v1, 0, s[12:13]
	s_andn2_b64 vcc, exec, s[8:9]
	v_mov_b64_e32 v[2:3], s[10:11]
	s_cbranch_vccnz .LBB19_4
.LBB19_3:
	v_mov_b64_e32 v[2:3], s[40:41]
	flat_load_dwordx2 v[2:3], v[2:3]
.LBB19_4:
	s_mov_b32 s35, 0
	v_cndmask_b32_e64 v4, 0, 1, s[6:7]
	v_cmp_ne_u32_e64 s[18:19], 1, v4
	s_andn2_b64 vcc, exec, s[6:7]
	s_mov_b32 s60, s35
	s_cbranch_vccnz .LBB19_10
; %bb.5:
	s_xor_b64 s[6:7], s[4:5], -1
	v_cndmask_b32_e64 v4, 0, 1, s[6:7]
	v_cmp_ne_u32_e64 s[4:5], 1, v4
	s_andn2_b64 vcc, exec, s[6:7]
	s_mov_b32 s35, s42
	s_cbranch_vccnz .LBB19_7
; %bb.6:
	s_load_dword s35, s[42:43], 0x0
.LBB19_7:
	s_and_b64 vcc, exec, s[4:5]
	s_cbranch_vccnz .LBB19_9
; %bb.8:
	s_load_dword s43, s[42:43], 0x4
.LBB19_9:
	s_waitcnt lgkmcnt(0)
	s_mov_b32 s60, s43
.LBB19_10:
	s_load_dwordx4 s[28:31], s[0:1], 0x30
	s_load_dwordx2 s[38:39], s[0:1], 0x40
	s_mov_b32 s3, 0
	s_lshl_b64 s[2:3], s[2:3], 2
	s_waitcnt lgkmcnt(0)
	s_add_u32 s2, s30, s2
	s_addc_u32 s3, s31, s3
	s_load_dword s30, s[2:3], 0x0
	s_load_dwordx8 s[20:27], s[0:1], 0x8
	s_waitcnt lgkmcnt(0)
	s_ashr_i32 s31, s30, 31
	s_lshl_b64 s[40:41], s[30:31], 2
	s_add_u32 s2, s26, s40
	s_addc_u32 s3, s27, s41
	s_load_dword s44, s[2:3], 0x0
	s_waitcnt lgkmcnt(0)
	s_cmp_eq_u32 s44, -1
	s_cbranch_scc1 .LBB19_103
; %bb.11:
	s_add_u32 s2, s20, s40
	s_addc_u32 s3, s21, s41
	s_load_dwordx2 s[4:5], s[2:3], 0x0
	s_load_dwordx2 s[46:47], s[0:1], 0x0
	s_load_dword s31, s[0:1], 0x28
	s_mov_b64 s[42:43], 0
	s_waitcnt lgkmcnt(0)
	s_sub_i32 s48, s4, s34
	s_sub_i32 s33, s5, s34
	s_cmp_ge_i32 s48, s44
	s_cbranch_scc1 .LBB19_92
; %bb.12:
	v_and_b32_e32 v15, 0x3ff, v0
	s_cmp_lg_u32 s46, 0
	v_bfe_u32 v26, v0, 10, 10
	s_cselect_b64 s[50:51], -1, 0
	s_cmp_gt_i32 s31, 0
	s_movk_i32 s12, 0x208
	v_lshlrev_b32_e32 v8, 3, v15
	s_mul_i32 s13, s31, s48
	s_cselect_b64 s[0:1], -1, 0
	v_lshl_or_b32 v4, v26, 6, v15
	v_mad_u32_u24 v28, v26, s12, v8
	v_add_u32_e32 v8, s13, v15
	v_add_u32_e32 v4, s48, v4
	v_mul_lo_u32 v29, s31, v8
	v_cndmask_b32_e64 v8, 0, 1, s[0:1]
	v_add_u32_e32 v27, 1, v26
	v_ashrrev_i32_e32 v5, 31, v4
	v_mad_u32_u24 v31, v26, s12, s12
	v_cmp_ne_u32_e64 s[12:13], 1, v8
	v_mbcnt_lo_u32_b32 v8, -1, 0
	v_cmp_gt_i32_e64 s[2:3], s31, v15
	v_cmp_le_i32_e64 s[4:5], s31, v15
	v_cmp_gt_i32_e64 s[6:7], s31, v26
	v_cmp_eq_u32_e64 s[8:9], 0, v26
	v_cmp_gt_i32_e64 s[10:11], s33, v4
	s_add_i32 s45, s47, 1
	v_lshl_add_u64 v[6:7], v[4:5], 2, s[22:23]
	s_lshl_b32 s47, s31, 6
	v_mul_u32_u24_e32 v5, 0x208, v26
	v_add_u32_e32 v30, v27, v29
	s_mul_i32 s61, s31, s31
	v_mov_b32_e32 v32, 0
	v_cndmask_b32_e64 v33, 0, 1, s[50:51]
	v_mbcnt_hi_u32_b32 v34, -1, v8
	s_branch .LBB19_15
.LBB19_13:                              ;   in Loop: Header=BB19_15 Depth=1
	s_mov_b64 s[42:43], -1
.LBB19_14:                              ;   in Loop: Header=BB19_15 Depth=1
	s_add_i32 s48, s48, 1
	s_cmp_lt_i32 s48, s44
	s_cselect_b64 s[0:1], -1, 0
	s_and_b64 s[0:1], s[14:15], s[0:1]
	v_add_u32_e32 v30, s61, v30
	v_add_u32_e32 v29, s61, v29
	s_and_b64 vcc, exec, s[0:1]
	s_cbranch_vccz .LBB19_92
.LBB19_15:                              ; =>This Loop Header: Depth=1
                                        ;     Child Loop BB19_17 Depth 2
                                        ;     Child Loop BB19_21 Depth 2
                                        ;       Child Loop BB19_24 Depth 3
                                        ;     Child Loop BB19_31 Depth 2
                                        ;       Child Loop BB19_34 Depth 3
                                        ;         Child Loop BB19_45 Depth 4
                                        ;     Child Loop BB19_56 Depth 2
                                        ;       Child Loop BB19_61 Depth 3
                                        ;       Child Loop BB19_70 Depth 3
                                        ;         Child Loop BB19_73 Depth 4
                                        ;       Child Loop BB19_79 Depth 3
                                        ;         Child Loop BB19_82 Depth 4
                                        ;           Child Loop BB19_84 Depth 5
	s_ashr_i32 s49, s48, 31
	s_lshl_b64 s[0:1], s[48:49], 2
	s_add_u32 s0, s22, s0
	s_addc_u32 s1, s23, s1
	global_load_dword v8, v32, s[0:1]
	s_waitcnt vmcnt(0)
	v_readfirstlane_b32 s0, v8
	s_sub_i32 s0, s0, s34
	s_ashr_i32 s1, s0, 31
	s_lshl_b64 s[0:1], s[0:1], 2
	s_add_u32 s14, s26, s0
	s_addc_u32 s15, s27, s1
	global_load_dword v8, v32, s[14:15]
	s_waitcnt vmcnt(0)
	v_cmp_eq_u32_e32 vcc, -1, v8
	v_readfirstlane_b32 s63, v8
	v_cmp_ne_u32_e64 s[14:15], -1, v8
	s_cbranch_vccnz .LBB19_13
; %bb.16:                               ;   in Loop: Header=BB19_15 Depth=1
	s_add_u32 s16, s20, s0
	s_addc_u32 s17, s21, s1
	global_load_dword v8, v32, s[16:17] offset:4
	s_add_u32 s0, s28, s0
	s_addc_u32 s1, s29, s1
	s_waitcnt vmcnt(0)
	v_readfirstlane_b32 s62, v8
.LBB19_17:                              ;   Parent Loop BB19_15 Depth=1
                                        ; =>  This Inner Loop Header: Depth=2
	global_load_dword v8, v32, s[0:1] sc1
	s_waitcnt vmcnt(0)
	v_cmp_eq_u32_e32 vcc, 0, v8
	s_cbranch_vccnz .LBB19_17
; %bb.18:                               ;   in Loop: Header=BB19_15 Depth=1
	buffer_inv sc1
	s_and_saveexec_b64 s[0:1], s[2:3]
	s_cbranch_execz .LBB19_28
; %bb.19:                               ;   in Loop: Header=BB19_15 Depth=1
	s_mul_i32 s49, s63, s31
	v_add_u32_e32 v8, s49, v15
	s_waitcnt lgkmcnt(0)
	v_mul_lo_u32 v9, s31, v8
	s_mov_b64 s[16:17], 0
	v_mov_b32_e32 v12, v28
	v_mov_b32_e32 v8, v15
	s_branch .LBB19_21
.LBB19_20:                              ;   in Loop: Header=BB19_21 Depth=2
	s_or_b64 exec, exec, s[52:53]
	v_add_u32_e32 v8, 64, v8
	v_cmp_le_i32_e32 vcc, s31, v8
	v_add_u32_e32 v9, s47, v9
	s_or_b64 s[16:17], vcc, s[16:17]
	v_add_u32_e32 v12, 0x200, v12
	s_andn2_b64 exec, exec, s[16:17]
	s_cbranch_execz .LBB19_28
.LBB19_21:                              ;   Parent Loop BB19_15 Depth=1
                                        ; =>  This Loop Header: Depth=2
                                        ;       Child Loop BB19_24 Depth 3
	s_and_saveexec_b64 s[52:53], s[6:7]
	s_cbranch_execz .LBB19_20
; %bb.22:                               ;   in Loop: Header=BB19_21 Depth=2
	s_mov_b64 s[54:55], 0
	v_mov_b32_e32 v13, v12
	v_mov_b32_e32 v14, v26
	s_branch .LBB19_24
.LBB19_23:                              ;   in Loop: Header=BB19_24 Depth=3
	v_ashrrev_i32_e32 v11, 31, v10
	v_lshl_add_u64 v[10:11], v[10:11], 3, s[24:25]
	global_load_dwordx2 v[10:11], v[10:11], off
	v_add_u32_e32 v14, 1, v14
	v_cmp_le_i32_e32 vcc, s31, v14
	s_or_b64 s[54:55], vcc, s[54:55]
	s_waitcnt vmcnt(0)
	ds_write_b64 v13, v[10:11]
	v_add_u32_e32 v13, 0x208, v13
	s_andn2_b64 exec, exec, s[54:55]
	s_cbranch_execz .LBB19_20
.LBB19_24:                              ;   Parent Loop BB19_15 Depth=1
                                        ;     Parent Loop BB19_21 Depth=2
                                        ; =>    This Inner Loop Header: Depth=3
	s_and_b64 vcc, exec, s[50:51]
	s_cbranch_vccz .LBB19_26
; %bb.25:                               ;   in Loop: Header=BB19_24 Depth=3
	v_add_u32_e32 v10, s49, v14
	v_mad_u64_u32 v[10:11], s[56:57], v10, s31, v[8:9]
	s_cbranch_execnz .LBB19_23
	s_branch .LBB19_27
.LBB19_26:                              ;   in Loop: Header=BB19_24 Depth=3
                                        ; implicit-def: $vgpr10
.LBB19_27:                              ;   in Loop: Header=BB19_24 Depth=3
	v_add_u32_e32 v10, v9, v14
	s_branch .LBB19_23
.LBB19_28:                              ;   in Loop: Header=BB19_15 Depth=1
	s_or_b64 exec, exec, s[0:1]
	s_and_b64 vcc, exec, s[12:13]
	s_mul_i32 s49, s48, s31
	s_waitcnt lgkmcnt(0)
	s_cbranch_vccnz .LBB19_51
; %bb.29:                               ;   in Loop: Header=BB19_15 Depth=1
	s_mov_b32 s64, 0
	v_mov_b32_e32 v35, v31
	v_mov_b32_e32 v36, v30
	s_branch .LBB19_31
.LBB19_30:                              ;   in Loop: Header=BB19_31 Depth=2
	s_or_b64 exec, exec, s[52:53]
	s_add_i32 s64, s64, 1
	v_add_u32_e32 v36, 1, v36
	s_cmp_eq_u32 s64, s31
	v_add_u32_e32 v35, 0x210, v35
	s_cbranch_scc1 .LBB19_51
.LBB19_31:                              ;   Parent Loop BB19_15 Depth=1
                                        ; =>  This Loop Header: Depth=2
                                        ;       Child Loop BB19_34 Depth 3
                                        ;         Child Loop BB19_45 Depth 4
	s_and_saveexec_b64 s[52:53], s[2:3]
	s_cbranch_execz .LBB19_30
; %bb.32:                               ;   in Loop: Header=BB19_31 Depth=2
	s_mul_i32 s0, s64, 0x208
	s_lshl_b32 s1, s64, 3
	s_add_i32 s0, s0, s1
	v_mov_b32_e32 v8, s0
	ds_read_b64 v[8:9], v8
	s_add_i32 s65, s64, s49
	v_add_u32_e32 v37, s64, v27
	s_mul_i32 s65, s65, s31
	v_cmp_gt_i32_e64 s[16:17], s31, v37
	s_waitcnt lgkmcnt(0)
	v_mul_f32_e32 v10, v9, v9
	v_fmac_f32_e32 v10, v8, v8
	v_div_scale_f32 v11, s[0:1], v10, v10, 1.0
	v_rcp_f32_e32 v12, v11
	v_div_scale_f32 v13, vcc, 1.0, v10, 1.0
	s_mov_b64 s[54:55], 0
	v_fma_f32 v14, -v11, v12, 1.0
	v_fmac_f32_e32 v12, v14, v12
	v_mul_f32_e32 v14, v13, v12
	v_fma_f32 v16, -v11, v14, v13
	v_fmac_f32_e32 v14, v16, v12
	v_fma_f32 v11, -v11, v14, v13
	v_div_fmas_f32 v11, v11, v12, v14
	v_div_fixup_f32 v10, v11, v10, 1.0
	v_mov_b32_e32 v11, v10
	v_mov_b32_e32 v12, v8
	;; [unrolled: 1-line block ×6, first 2 shown]
	s_branch .LBB19_34
.LBB19_33:                              ;   in Loop: Header=BB19_34 Depth=3
	s_or_b64 exec, exec, s[56:57]
	v_add_u32_e32 v14, 64, v14
	v_cmp_le_i32_e32 vcc, s31, v14
	s_or_b64 s[54:55], vcc, s[54:55]
	v_add_u32_e32 v38, s47, v38
	s_andn2_b64 exec, exec, s[54:55]
	s_cbranch_execz .LBB19_30
.LBB19_34:                              ;   Parent Loop BB19_15 Depth=1
                                        ;     Parent Loop BB19_31 Depth=2
                                        ; =>    This Loop Header: Depth=3
                                        ;         Child Loop BB19_45 Depth 4
	s_and_b64 vcc, exec, s[50:51]
	s_cbranch_vccz .LBB19_49
; %bb.35:                               ;   in Loop: Header=BB19_34 Depth=3
	v_add_u32_e32 v16, s65, v14
	s_cbranch_execnz .LBB19_37
.LBB19_36:                              ;   in Loop: Header=BB19_34 Depth=3
	v_add_u32_e32 v16, s49, v14
	v_mul_lo_u32 v16, v16, s31
	v_add_u32_e32 v16, s64, v16
.LBB19_37:                              ;   in Loop: Header=BB19_34 Depth=3
	v_ashrrev_i32_e32 v17, 31, v16
	v_lshl_add_u64 v[16:17], v[16:17], 3, s[24:25]
	global_load_dwordx2 v[16:17], v[16:17], off
	s_waitcnt vmcnt(0)
	v_xor_b32_e32 v19, 0x80000000, v16
	v_mov_b32_e32 v18, v17
	v_pk_mul_f32 v[18:19], v[8:9], v[18:19]
	s_nop 0
	v_pk_fma_f32 v[16:17], v[16:17], v[12:13], v[18:19]
	s_nop 0
	v_pk_mul_f32 v[16:17], v[10:11], v[16:17]
	s_and_saveexec_b64 s[0:1], s[8:9]
	s_cbranch_execz .LBB19_42
; %bb.38:                               ;   in Loop: Header=BB19_34 Depth=3
	s_and_b64 vcc, exec, s[50:51]
	s_cbranch_vccz .LBB19_50
; %bb.39:                               ;   in Loop: Header=BB19_34 Depth=3
	v_add_u32_e32 v18, s65, v14
	s_cbranch_execnz .LBB19_41
.LBB19_40:                              ;   in Loop: Header=BB19_34 Depth=3
	v_add_u32_e32 v18, s49, v14
	v_mul_lo_u32 v18, v18, s31
	v_add_u32_e32 v18, s64, v18
.LBB19_41:                              ;   in Loop: Header=BB19_34 Depth=3
	v_ashrrev_i32_e32 v19, 31, v18
	v_lshl_add_u64 v[18:19], v[18:19], 3, s[24:25]
	global_store_dwordx2 v[18:19], v[16:17], off
.LBB19_42:                              ;   in Loop: Header=BB19_34 Depth=3
	s_or_b64 exec, exec, s[0:1]
	s_and_saveexec_b64 s[56:57], s[16:17]
	s_cbranch_execz .LBB19_33
; %bb.43:                               ;   in Loop: Header=BB19_34 Depth=3
	v_pk_add_f32 v[18:19], v[16:17], 0 neg_lo:[1,1] neg_hi:[1,1]
	s_mov_b64 s[58:59], 0
	v_pk_mov_b32 v[18:19], v[16:17], v[18:19] op_sel:[1,0]
	v_mov_b32_e32 v39, v35
	v_mov_b32_e32 v40, v38
	;; [unrolled: 1-line block ×3, first 2 shown]
	s_branch .LBB19_45
.LBB19_44:                              ;   in Loop: Header=BB19_45 Depth=4
	v_add_u32_e32 v41, 1, v41
	s_waitcnt vmcnt(0) lgkmcnt(0)
	v_pk_fma_f32 v[24:25], v[16:17], v[20:21], v[24:25] op_sel_hi:[1,0,1] neg_lo:[1,0,0] neg_hi:[1,0,0]
	v_ashrrev_i32_e32 v23, 31, v22
	v_cmp_le_i32_e32 vcc, s31, v41
	v_pk_fma_f32 v[20:21], v[18:19], v[20:21], v[24:25] op_sel:[0,1,0]
	v_lshl_add_u64 v[22:23], v[22:23], 3, s[24:25]
	v_add_u32_e32 v40, 1, v40
	s_or_b64 s[58:59], vcc, s[58:59]
	v_add_u32_e32 v39, 0x208, v39
	global_store_dwordx2 v[22:23], v[20:21], off
	s_andn2_b64 exec, exec, s[58:59]
	s_cbranch_execz .LBB19_33
.LBB19_45:                              ;   Parent Loop BB19_15 Depth=1
                                        ;     Parent Loop BB19_31 Depth=2
                                        ;       Parent Loop BB19_34 Depth=3
                                        ; =>      This Inner Loop Header: Depth=4
	ds_read_b64 v[20:21], v39
	v_cmp_ne_u32_e64 s[0:1], 1, v33
	s_andn2_b64 vcc, exec, s[50:51]
	v_add_u32_e32 v42, s49, v41
	v_mov_b32_e32 v22, v40
	s_cbranch_vccnz .LBB19_47
; %bb.46:                               ;   in Loop: Header=BB19_45 Depth=4
	v_mad_u64_u32 v[22:23], s[66:67], v42, s31, v[14:15]
.LBB19_47:                              ;   in Loop: Header=BB19_45 Depth=4
	v_ashrrev_i32_e32 v23, 31, v22
	v_lshl_add_u64 v[22:23], v[22:23], 3, s[24:25]
	global_load_dwordx2 v[24:25], v[22:23], off
	s_and_b64 vcc, exec, s[0:1]
	v_mov_b32_e32 v22, v40
	s_cbranch_vccnz .LBB19_44
; %bb.48:                               ;   in Loop: Header=BB19_45 Depth=4
	v_mad_u64_u32 v[22:23], s[0:1], v42, s31, v[14:15]
	s_branch .LBB19_44
.LBB19_49:                              ;   in Loop: Header=BB19_34 Depth=3
                                        ; implicit-def: $vgpr16
	s_branch .LBB19_36
.LBB19_50:                              ;   in Loop: Header=BB19_34 Depth=3
                                        ; implicit-def: $vgpr18
	s_branch .LBB19_40
.LBB19_51:                              ;   in Loop: Header=BB19_15 Depth=1
	s_sub_i32 s62, s62, s34
	s_add_i32 s0, s63, 1
	s_cmp_ge_i32 s0, s62
	s_cbranch_scc1 .LBB19_14
; %bb.52:                               ;   in Loop: Header=BB19_15 Depth=1
	s_mul_i32 s1, s31, s0
	v_add_u32_e32 v8, s1, v15
	v_mul_lo_u32 v14, s31, v8
	s_branch .LBB19_56
.LBB19_53:                              ;   in Loop: Header=BB19_56 Depth=2
	s_or_b64 exec, exec, s[52:53]
.LBB19_54:                              ;   in Loop: Header=BB19_56 Depth=2
	s_or_b64 exec, exec, s[16:17]
.LBB19_55:                              ;   in Loop: Header=BB19_56 Depth=2
	s_add_i32 s0, s0, 1
	s_cmp_lt_i32 s0, s62
	v_add_u32_e32 v14, s61, v14
	s_cbranch_scc0 .LBB19_14
.LBB19_56:                              ;   Parent Loop BB19_15 Depth=1
                                        ; =>  This Loop Header: Depth=2
                                        ;       Child Loop BB19_61 Depth 3
                                        ;       Child Loop BB19_70 Depth 3
                                        ;         Child Loop BB19_73 Depth 4
                                        ;       Child Loop BB19_79 Depth 3
                                        ;         Child Loop BB19_82 Depth 4
                                        ;           Child Loop BB19_84 Depth 5
	s_ashr_i32 s1, s0, 31
	s_lshl_b64 s[16:17], s[0:1], 2
	s_add_u32 s16, s22, s16
	s_addc_u32 s17, s23, s17
	global_load_dword v8, v32, s[16:17]
	s_waitcnt lgkmcnt(0)
	v_mov_b32_e32 v9, s45
	s_and_saveexec_b64 s[16:17], s[10:11]
	s_cbranch_execz .LBB19_58
; %bb.57:                               ;   in Loop: Header=BB19_56 Depth=2
	global_load_dword v9, v[6:7], off
	s_waitcnt vmcnt(0)
	v_subrev_u32_e32 v9, s34, v9
.LBB19_58:                              ;   in Loop: Header=BB19_56 Depth=2
	s_or_b64 exec, exec, s[16:17]
	s_waitcnt vmcnt(0)
	v_subrev_u32_e32 v10, s34, v8
	v_cmp_lt_i32_e32 vcc, v9, v10
	v_mov_b32_e32 v11, v4
	s_and_saveexec_b64 s[16:17], vcc
	s_cbranch_execz .LBB19_64
; %bb.59:                               ;   in Loop: Header=BB19_56 Depth=2
	s_mov_b64 s[52:53], 0
	v_mov_b32_e32 v8, v4
	s_branch .LBB19_61
.LBB19_60:                              ;   in Loop: Header=BB19_61 Depth=3
	s_or_b64 exec, exec, s[54:55]
	v_cmp_ge_i32_e32 vcc, v9, v10
	s_or_b64 s[52:53], vcc, s[52:53]
	v_mov_b32_e32 v8, v11
	s_andn2_b64 exec, exec, s[52:53]
	s_cbranch_execz .LBB19_63
.LBB19_61:                              ;   Parent Loop BB19_15 Depth=1
                                        ;     Parent Loop BB19_56 Depth=2
                                        ; =>    This Inner Loop Header: Depth=3
	v_add_u32_e32 v11, 64, v8
	v_cmp_gt_i32_e32 vcc, s33, v11
	v_mov_b32_e32 v9, s45
	s_and_saveexec_b64 s[54:55], vcc
	s_cbranch_execz .LBB19_60
; %bb.62:                               ;   in Loop: Header=BB19_61 Depth=3
	v_ashrrev_i32_e32 v9, 31, v8
	v_lshl_add_u64 v[8:9], v[8:9], 2, s[22:23]
	global_load_dword v8, v[8:9], off offset:256
	s_waitcnt vmcnt(0)
	v_subrev_u32_e32 v9, s34, v8
	s_branch .LBB19_60
.LBB19_63:                              ;   in Loop: Header=BB19_56 Depth=2
	s_or_b64 exec, exec, s[52:53]
.LBB19_64:                              ;   in Loop: Header=BB19_56 Depth=2
	s_or_b64 exec, exec, s[16:17]
	v_cmp_eq_u32_e32 vcc, v9, v10
	s_cbranch_vccz .LBB19_55
; %bb.65:                               ;   in Loop: Header=BB19_56 Depth=2
	s_ff1_i32_b64 s1, vcc
	v_and_or_b32 v8, v34, 64, s1
	v_lshlrev_b32_e32 v8, 2, v8
	ds_bpermute_b32 v9, v8, v11
	s_and_saveexec_b64 s[16:17], s[4:5]
	s_xor_b64 s[16:17], exec, s[16:17]
	s_cbranch_execz .LBB19_67
; %bb.66:                               ;   in Loop: Header=BB19_56 Depth=2
	s_waitcnt lgkmcnt(0)
                                        ; implicit-def: $vgpr9
.LBB19_67:                              ;   in Loop: Header=BB19_56 Depth=2
	s_andn2_saveexec_b64 s[16:17], s[16:17]
	s_cbranch_execz .LBB19_54
; %bb.68:                               ;   in Loop: Header=BB19_56 Depth=2
	s_mul_i32 s1, s0, s31
	s_mov_b64 s[52:53], 0
	v_mov_b32_e32 v12, v28
	v_mov_b32_e32 v13, v14
	;; [unrolled: 1-line block ×3, first 2 shown]
	s_branch .LBB19_70
.LBB19_69:                              ;   in Loop: Header=BB19_70 Depth=3
	s_or_b64 exec, exec, s[54:55]
	v_add_u32_e32 v8, 64, v8
	v_cmp_le_i32_e32 vcc, s31, v8
	v_add_u32_e32 v13, s47, v13
	s_or_b64 s[52:53], vcc, s[52:53]
	v_add_u32_e32 v12, 0x200, v12
	s_andn2_b64 exec, exec, s[52:53]
	s_cbranch_execz .LBB19_77
.LBB19_70:                              ;   Parent Loop BB19_15 Depth=1
                                        ;     Parent Loop BB19_56 Depth=2
                                        ; =>    This Loop Header: Depth=3
                                        ;         Child Loop BB19_73 Depth 4
	s_and_saveexec_b64 s[54:55], s[6:7]
	s_cbranch_execz .LBB19_69
; %bb.71:                               ;   in Loop: Header=BB19_70 Depth=3
	s_mov_b64 s[56:57], 0
	v_mov_b32_e32 v16, v12
	v_mov_b32_e32 v17, v26
	s_branch .LBB19_73
.LBB19_72:                              ;   in Loop: Header=BB19_73 Depth=4
	v_ashrrev_i32_e32 v11, 31, v10
	v_lshl_add_u64 v[10:11], v[10:11], 3, s[24:25]
	global_load_dwordx2 v[10:11], v[10:11], off
	v_add_u32_e32 v17, 1, v17
	v_cmp_le_i32_e32 vcc, s31, v17
	s_or_b64 s[56:57], vcc, s[56:57]
	s_waitcnt vmcnt(0)
	ds_write_b64 v16, v[10:11]
	v_add_u32_e32 v16, 0x208, v16
	s_andn2_b64 exec, exec, s[56:57]
	s_cbranch_execz .LBB19_69
.LBB19_73:                              ;   Parent Loop BB19_15 Depth=1
                                        ;     Parent Loop BB19_56 Depth=2
                                        ;       Parent Loop BB19_70 Depth=3
                                        ; =>      This Inner Loop Header: Depth=4
	s_and_b64 vcc, exec, s[50:51]
	s_cbranch_vccz .LBB19_75
; %bb.74:                               ;   in Loop: Header=BB19_73 Depth=4
	v_add_u32_e32 v10, s1, v17
	s_waitcnt lgkmcnt(0)
	v_mad_u64_u32 v[10:11], s[58:59], v10, s31, v[8:9]
	s_cbranch_execnz .LBB19_72
	s_branch .LBB19_76
.LBB19_75:                              ;   in Loop: Header=BB19_73 Depth=4
                                        ; implicit-def: $vgpr10
.LBB19_76:                              ;   in Loop: Header=BB19_73 Depth=4
	v_add_u32_e32 v10, v13, v17
	s_branch .LBB19_72
.LBB19_77:                              ;   in Loop: Header=BB19_56 Depth=2
	s_or_b64 exec, exec, s[52:53]
	s_waitcnt lgkmcnt(0)
	v_mul_lo_u32 v9, v9, s31
	s_mov_b64 s[52:53], 0
	v_mov_b32_e32 v16, v29
	v_mov_b32_e32 v8, v15
	s_branch .LBB19_79
.LBB19_78:                              ;   in Loop: Header=BB19_79 Depth=3
	s_or_b64 exec, exec, s[54:55]
	v_add_u32_e32 v8, 64, v8
	v_cmp_le_i32_e32 vcc, s31, v8
	s_or_b64 s[52:53], vcc, s[52:53]
	v_add_u32_e32 v16, s47, v16
	s_andn2_b64 exec, exec, s[52:53]
	s_cbranch_execz .LBB19_53
.LBB19_79:                              ;   Parent Loop BB19_15 Depth=1
                                        ;     Parent Loop BB19_56 Depth=2
                                        ; =>    This Loop Header: Depth=3
                                        ;         Child Loop BB19_82 Depth 4
                                        ;           Child Loop BB19_84 Depth 5
	s_and_saveexec_b64 s[54:55], s[6:7]
	s_cbranch_execz .LBB19_78
; %bb.80:                               ;   in Loop: Header=BB19_79 Depth=3
	v_add_u32_e32 v10, v8, v9
	v_mul_lo_u32 v17, v10, s31
	s_mov_b64 s[56:57], 0
	v_mov_b32_e32 v18, v5
	v_mov_b32_e32 v19, v26
	s_branch .LBB19_82
.LBB19_81:                              ;   in Loop: Header=BB19_82 Depth=4
	v_ashrrev_i32_e32 v13, 31, v12
	v_lshl_add_u64 v[12:13], v[12:13], 3, s[24:25]
	global_load_dwordx2 v[20:21], v[12:13], off
	v_add_u32_e32 v19, 1, v19
	v_cmp_le_i32_e32 vcc, s31, v19
	s_or_b64 s[56:57], vcc, s[56:57]
	v_add_u32_e32 v18, 0x208, v18
	s_waitcnt vmcnt(0)
	v_pk_add_f32 v[10:11], v[20:21], v[10:11] neg_lo:[0,1] neg_hi:[0,1]
	global_store_dwordx2 v[12:13], v[10:11], off
	s_andn2_b64 exec, exec, s[56:57]
	s_cbranch_execz .LBB19_78
.LBB19_82:                              ;   Parent Loop BB19_15 Depth=1
                                        ;     Parent Loop BB19_56 Depth=2
                                        ;       Parent Loop BB19_79 Depth=3
                                        ; =>      This Loop Header: Depth=4
                                        ;           Child Loop BB19_84 Depth 5
	v_mov_b32_e32 v10, 0
	s_mov_b32 s1, 0
	v_mov_b32_e32 v20, v18
	v_mov_b32_e32 v11, v10
	s_branch .LBB19_84
.LBB19_83:                              ;   in Loop: Header=BB19_84 Depth=5
	v_ashrrev_i32_e32 v13, 31, v12
	v_lshl_add_u64 v[12:13], v[12:13], 3, s[24:25]
	global_load_dwordx2 v[12:13], v[12:13], off
	ds_read_b64 v[22:23], v20
	s_add_i32 s1, s1, 1
	s_cmp_eq_u32 s31, s1
	v_add_u32_e32 v20, 8, v20
	s_waitcnt vmcnt(0)
	v_xor_b32_e32 v24, 0x80000000, v13
	s_waitcnt lgkmcnt(0)
	v_pk_fma_f32 v[10:11], v[12:13], v[22:23], v[10:11] op_sel_hi:[1,0,1]
	v_mov_b32_e32 v25, v12
	v_pk_fma_f32 v[10:11], v[24:25], v[22:23], v[10:11] op_sel:[0,1,0]
	s_cbranch_scc1 .LBB19_88
.LBB19_84:                              ;   Parent Loop BB19_15 Depth=1
                                        ;     Parent Loop BB19_56 Depth=2
                                        ;       Parent Loop BB19_79 Depth=3
                                        ;         Parent Loop BB19_82 Depth=4
                                        ; =>        This Inner Loop Header: Depth=5
	s_and_b64 vcc, exec, s[50:51]
	s_cbranch_vccz .LBB19_86
; %bb.85:                               ;   in Loop: Header=BB19_84 Depth=5
	s_add_i32 s58, s1, s49
	s_mul_i32 s58, s58, s31
	v_add_u32_e32 v12, s58, v8
	s_cbranch_execnz .LBB19_83
	s_branch .LBB19_87
.LBB19_86:                              ;   in Loop: Header=BB19_84 Depth=5
                                        ; implicit-def: $vgpr12
.LBB19_87:                              ;   in Loop: Header=BB19_84 Depth=5
	v_add_u32_e32 v12, s1, v16
	s_branch .LBB19_83
.LBB19_88:                              ;   in Loop: Header=BB19_82 Depth=4
	s_and_b64 vcc, exec, s[50:51]
	s_cbranch_vccz .LBB19_90
; %bb.89:                               ;   in Loop: Header=BB19_82 Depth=4
	v_add_u32_e32 v12, v19, v9
	v_mad_u64_u32 v[12:13], s[58:59], v12, s31, v[8:9]
	s_cbranch_execnz .LBB19_81
	s_branch .LBB19_91
.LBB19_90:                              ;   in Loop: Header=BB19_82 Depth=4
                                        ; implicit-def: $vgpr12
.LBB19_91:                              ;   in Loop: Header=BB19_82 Depth=4
	v_add_u32_e32 v12, v19, v17
	s_branch .LBB19_81
.LBB19_92:
	s_ashr_i32 s45, s44, 31
	s_lshl_b64 s[0:1], s[44:45], 2
	s_add_u32 s0, s22, s0
	s_addc_u32 s1, s23, s1
	v_mov_b32_e32 v4, 0
	s_waitcnt lgkmcnt(0)
	global_load_dword v4, v4, s[0:1]
	s_waitcnt vmcnt(0)
	v_subrev_u32_e32 v4, s34, v4
	v_cmp_ne_u32_e32 vcc, s30, v4
	s_cbranch_vccnz .LBB19_143
; %bb.93:
	v_and_b32_e32 v4, 0x3ff, v0
	v_cmp_gt_i32_e64 s[2:3], s31, v4
	v_lshlrev_b32_e32 v5, 3, v4
	s_and_saveexec_b64 s[4:5], s[2:3]
	s_cbranch_execz .LBB19_104
; %bb.94:
	s_mul_i32 s16, s44, s31
	v_bfe_u32 v7, v0, 10, 10
	s_cmp_lg_u32 s46, 0
	v_add_u32_e32 v6, s16, v4
	s_movk_i32 s8, 0x208
	v_cmp_gt_u32_e64 s[0:1], s31, v7
	s_cselect_b64 s[6:7], -1, 0
	v_mul_lo_u32 v10, s31, v6
	s_lshl_b32 s17, s31, 6
	v_mad_u32_u24 v11, v7, s8, v5
	s_mov_b64 s[8:9], 0
	v_mov_b32_e32 v6, v4
	s_branch .LBB19_96
.LBB19_95:                              ;   in Loop: Header=BB19_96 Depth=1
	s_or_b64 exec, exec, s[10:11]
	v_add_u32_e32 v6, 64, v6
	v_cmp_le_i32_e32 vcc, s31, v6
	v_add_u32_e32 v10, s17, v10
	s_or_b64 s[8:9], vcc, s[8:9]
	v_add_u32_e32 v11, 0x200, v11
	s_andn2_b64 exec, exec, s[8:9]
	s_cbranch_execz .LBB19_104
.LBB19_96:                              ; =>This Loop Header: Depth=1
                                        ;     Child Loop BB19_99 Depth 2
	s_and_saveexec_b64 s[10:11], s[0:1]
	s_cbranch_execz .LBB19_95
; %bb.97:                               ;   in Loop: Header=BB19_96 Depth=1
	s_mov_b64 s[12:13], 0
	v_mov_b32_e32 v12, v11
	v_mov_b32_e32 v13, v7
	s_branch .LBB19_99
.LBB19_98:                              ;   in Loop: Header=BB19_99 Depth=2
	v_ashrrev_i32_e32 v9, 31, v8
	v_lshl_add_u64 v[8:9], v[8:9], 3, s[24:25]
	global_load_dwordx2 v[8:9], v[8:9], off
	v_add_u32_e32 v13, 1, v13
	v_cmp_le_i32_e32 vcc, s31, v13
	s_or_b64 s[12:13], vcc, s[12:13]
	s_waitcnt vmcnt(0)
	ds_write_b64 v12, v[8:9]
	v_add_u32_e32 v12, 0x208, v12
	s_andn2_b64 exec, exec, s[12:13]
	s_cbranch_execz .LBB19_95
.LBB19_99:                              ;   Parent Loop BB19_96 Depth=1
                                        ; =>  This Inner Loop Header: Depth=2
	s_and_b64 vcc, exec, s[6:7]
	s_cbranch_vccz .LBB19_101
; %bb.100:                              ;   in Loop: Header=BB19_99 Depth=2
	v_add_u32_e32 v8, s16, v13
	v_mad_u64_u32 v[8:9], s[14:15], v8, s31, v[6:7]
	s_cbranch_execnz .LBB19_98
	s_branch .LBB19_102
.LBB19_101:                             ;   in Loop: Header=BB19_99 Depth=2
                                        ; implicit-def: $vgpr8
.LBB19_102:                             ;   in Loop: Header=BB19_99 Depth=2
	v_add_u32_e32 v8, v10, v13
	s_branch .LBB19_98
.LBB19_103:
	s_mov_b64 s[42:43], -1
	s_branch .LBB19_178
.LBB19_104:
	s_or_b64 exec, exec, s[4:5]
	s_cmp_lt_i32 s31, 1
	s_waitcnt lgkmcnt(0)
	s_cbranch_scc1 .LBB19_132
; %bb.105:
	s_cmp_eq_u64 s[36:37], 8
	v_cvt_f64_f32_e32 v[6:7], v1
	s_cselect_b64 vcc, -1, 0
	v_bfe_u32 v1, v0, 10, 10
	v_cndmask_b32_e32 v2, v6, v2, vcc
	v_or_b32_e32 v6, v4, v1
	v_cmp_eq_u32_e64 s[4:5], 0, v6
	s_movk_i32 s0, 0x208
	v_mul_u32_u24_e32 v6, 0x208, v1
	s_movk_i32 s1, 0x210
	v_cndmask_b32_e32 v3, v7, v3, vcc
	s_mov_b32 s17, 0
	v_cmp_eq_u32_e64 s[6:7], 0, v1
	v_add3_u32 v16, v6, v5, s1
	v_mad_u32_u24 v17, v1, s0, s0
	s_mov_b32 s16, 0xf800000
	v_mov_b32_e32 v18, 0x260
.LBB19_106:                             ; =>This Loop Header: Depth=1
                                        ;     Child Loop BB19_123 Depth 2
                                        ;       Child Loop BB19_127 Depth 3
	s_mul_i32 s20, s17, 0x208
	s_lshl_b32 s0, s17, 3
	s_add_i32 s12, s20, s0
	v_mov_b32_e32 v6, s12
	s_waitcnt lgkmcnt(0)
	ds_read_b64 v[8:9], v6
	s_mov_b64 s[10:11], -1
	s_mov_b64 s[8:9], 0
	s_and_b64 vcc, exec, s[18:19]
	s_mov_b64 s[0:1], 0
                                        ; implicit-def: $vgpr6_vgpr7
	s_cbranch_vccz .LBB19_111
; %bb.107:                              ;   in Loop: Header=BB19_106 Depth=1
	s_and_b64 vcc, exec, s[10:11]
	s_cbranch_vccnz .LBB19_119
.LBB19_108:                             ;   in Loop: Header=BB19_106 Depth=1
	s_andn2_b64 vcc, exec, s[0:1]
                                        ; implicit-def: $sgpr21
	s_cbranch_vccz .LBB19_120
.LBB19_109:                             ;   in Loop: Header=BB19_106 Depth=1
	s_andn2_b64 vcc, exec, s[8:9]
	s_cbranch_vccz .LBB19_129
.LBB19_110:                             ;   in Loop: Header=BB19_106 Depth=1
	v_add_u32_e32 v16, 0x210, v16
	s_cmp_eq_u32 s21, s31
	v_add_u32_e32 v17, 0x210, v17
	s_cbranch_scc0 .LBB19_130
	s_branch .LBB19_132
.LBB19_111:                             ;   in Loop: Header=BB19_106 Depth=1
	s_waitcnt lgkmcnt(0)
	v_cmp_gt_f32_e32 vcc, 0, v8
	s_nop 1
	v_cndmask_b32_e64 v6, v8, -v8, vcc
	v_cmp_gt_f32_e32 vcc, 0, v9
	s_nop 1
	v_cndmask_b32_e64 v7, v9, -v9, vcc
	v_cmp_ngt_f32_e32 vcc, v6, v7
	s_cbranch_vccz .LBB19_114
; %bb.112:                              ;   in Loop: Header=BB19_106 Depth=1
	v_cmp_eq_f32_e32 vcc, 0, v9
	s_cbranch_vccnz .LBB19_131
; %bb.113:                              ;   in Loop: Header=BB19_106 Depth=1
	v_div_scale_f32 v10, s[0:1], v7, v7, v6
	v_rcp_f32_e32 v11, v10
	v_div_scale_f32 v12, vcc, v6, v7, v6
	v_fma_f32 v13, -v10, v11, 1.0
	v_fmac_f32_e32 v11, v13, v11
	v_mul_f32_e32 v13, v12, v11
	v_fma_f32 v14, -v10, v13, v12
	v_fmac_f32_e32 v13, v14, v11
	v_fma_f32 v10, -v10, v13, v12
	v_div_fmas_f32 v10, v10, v11, v13
	v_div_fixup_f32 v10, v10, v7, v6
	v_fma_f32 v10, v10, v10, 1.0
	v_mul_f32_e32 v11, 0x4f800000, v10
	v_cmp_gt_f32_e32 vcc, s16, v10
	s_nop 1
	v_cndmask_b32_e32 v10, v10, v11, vcc
	v_sqrt_f32_e32 v11, v10
	s_nop 0
	v_add_u32_e32 v12, -1, v11
	v_fma_f32 v13, -v12, v11, v10
	v_cmp_ge_f32_e64 s[0:1], 0, v13
	v_add_u32_e32 v13, 1, v11
	s_nop 0
	v_cndmask_b32_e64 v12, v11, v12, s[0:1]
	v_fma_f32 v11, -v13, v11, v10
	v_cmp_lt_f32_e64 s[0:1], 0, v11
	s_nop 1
	v_cndmask_b32_e64 v11, v12, v13, s[0:1]
	v_mul_f32_e32 v12, 0x37800000, v11
	v_cndmask_b32_e32 v11, v11, v12, vcc
	v_cmp_class_f32_e32 vcc, v10, v18
	s_nop 1
	v_cndmask_b32_e32 v10, v11, v10, vcc
	v_mul_f32_e32 v10, v7, v10
	s_cbranch_execz .LBB19_115
	s_branch .LBB19_116
.LBB19_114:                             ;   in Loop: Header=BB19_106 Depth=1
                                        ; implicit-def: $vgpr10
.LBB19_115:                             ;   in Loop: Header=BB19_106 Depth=1
	v_div_scale_f32 v10, s[0:1], v6, v6, v7
	v_rcp_f32_e32 v11, v10
	v_div_scale_f32 v12, vcc, v7, v6, v7
	v_fma_f32 v13, -v10, v11, 1.0
	v_fmac_f32_e32 v11, v13, v11
	v_mul_f32_e32 v13, v12, v11
	v_fma_f32 v14, -v10, v13, v12
	v_fmac_f32_e32 v13, v14, v11
	v_fma_f32 v10, -v10, v13, v12
	v_div_fmas_f32 v10, v10, v11, v13
	v_div_fixup_f32 v7, v10, v6, v7
	v_fma_f32 v7, v7, v7, 1.0
	v_mul_f32_e32 v10, 0x4f800000, v7
	v_cmp_gt_f32_e32 vcc, s16, v7
	s_nop 1
	v_cndmask_b32_e32 v7, v7, v10, vcc
	v_sqrt_f32_e32 v10, v7
	s_nop 0
	v_add_u32_e32 v11, -1, v10
	v_fma_f32 v12, -v11, v10, v7
	v_cmp_ge_f32_e64 s[0:1], 0, v12
	v_add_u32_e32 v12, 1, v10
	s_nop 0
	v_cndmask_b32_e64 v11, v10, v11, s[0:1]
	v_fma_f32 v10, -v12, v10, v7
	v_cmp_lt_f32_e64 s[0:1], 0, v10
	s_nop 1
	v_cndmask_b32_e64 v10, v11, v12, s[0:1]
	v_mul_f32_e32 v11, 0x37800000, v10
	v_cndmask_b32_e32 v10, v10, v11, vcc
	v_cmp_class_f32_e32 vcc, v7, v18
	s_nop 1
	v_cndmask_b32_e32 v7, v10, v7, vcc
	v_mul_f32_e32 v10, v6, v7
.LBB19_116:                             ;   in Loop: Header=BB19_106 Depth=1
	v_cvt_f64_f32_e32 v[6:7], v10
	v_mov_b32_e32 v10, s60
	v_cmp_ge_f64_e32 vcc, v[2:3], v[6:7]
	v_mov_b32_e32 v7, s35
	s_nop 0
	v_cndmask_b32_e32 v6, v9, v10, vcc
	v_cndmask_b32_e32 v7, v8, v7, vcc
	s_and_saveexec_b64 s[0:1], s[4:5]
; %bb.117:                              ;   in Loop: Header=BB19_106 Depth=1
	v_mov_b32_e32 v10, v7
	v_mov_b32_e32 v11, v6
	;; [unrolled: 1-line block ×3, first 2 shown]
	ds_write_b64 v12, v[10:11]
; %bb.118:                              ;   in Loop: Header=BB19_106 Depth=1
	s_or_b64 exec, exec, s[0:1]
	s_mov_b64 s[0:1], -1
	s_branch .LBB19_108
.LBB19_119:                             ;   in Loop: Header=BB19_106 Depth=1
	s_waitcnt lgkmcnt(0)
	v_mov_b32_e32 v7, v8
	v_or_b32_e32 v8, v8, v9
	v_and_b32_e32 v8, 0x7fffffff, v8
	v_mov_b32_e32 v6, v9
	v_cmp_ne_u32_e64 s[0:1], 0, v8
	s_mov_b64 s[8:9], -1
	s_andn2_b64 vcc, exec, s[0:1]
                                        ; implicit-def: $sgpr21
	s_cbranch_vccnz .LBB19_109
.LBB19_120:                             ;   in Loop: Header=BB19_106 Depth=1
	s_add_i32 s21, s17, 1
	v_add_u32_e32 v19, s21, v4
	v_cmp_gt_i32_e32 vcc, s31, v19
	s_and_saveexec_b64 s[8:9], vcc
	s_cbranch_execz .LBB19_128
; %bb.121:                              ;   in Loop: Header=BB19_106 Depth=1
	s_waitcnt lgkmcnt(0)
	v_mul_f32_e32 v8, v6, v6
	v_fmac_f32_e32 v8, v7, v7
	v_div_scale_f32 v9, s[0:1], v8, v8, 1.0
	v_rcp_f32_e32 v10, v9
	v_div_scale_f32 v11, vcc, 1.0, v8, 1.0
	v_add_u32_e32 v20, s21, v1
	v_fma_f32 v12, -v9, v10, 1.0
	v_fmac_f32_e32 v10, v12, v10
	v_mul_f32_e32 v12, v11, v10
	v_fma_f32 v13, -v9, v12, v11
	v_fmac_f32_e32 v12, v13, v10
	v_fma_f32 v9, -v9, v12, v11
	v_div_fmas_f32 v9, v9, v10, v12
	v_div_fixup_f32 v8, v9, v8, 1.0
	v_cmp_gt_i32_e32 vcc, s31, v20
	v_mov_b32_e32 v9, v8
	v_mov_b32_e32 v10, v6
	;; [unrolled: 1-line block ×4, first 2 shown]
	s_mov_b64 s[10:11], 0
	v_mov_b32_e32 v21, v16
	s_branch .LBB19_123
.LBB19_122:                             ;   in Loop: Header=BB19_123 Depth=2
	s_or_b64 exec, exec, s[12:13]
	v_add_u32_e32 v19, 64, v19
	v_cmp_le_i32_e64 s[0:1], s31, v19
	s_or_b64 s[10:11], s[0:1], s[10:11]
	v_add_u32_e32 v21, 0x200, v21
	s_andn2_b64 exec, exec, s[10:11]
	s_cbranch_execz .LBB19_128
.LBB19_123:                             ;   Parent Loop BB19_106 Depth=1
                                        ; =>  This Loop Header: Depth=2
                                        ;       Child Loop BB19_127 Depth 3
	v_lshl_add_u32 v14, v19, 3, s20
	ds_read_b64 v[12:13], v14
	s_waitcnt lgkmcnt(0)
	v_xor_b32_e32 v23, 0x80000000, v12
	v_mov_b32_e32 v22, v13
	v_pk_mul_f32 v[22:23], v[10:11], v[22:23]
	s_nop 0
	v_pk_fma_f32 v[12:13], v[12:13], v[6:7], v[22:23]
	s_nop 0
	v_pk_mul_f32 v[12:13], v[8:9], v[12:13]
	s_and_saveexec_b64 s[0:1], s[6:7]
; %bb.124:                              ;   in Loop: Header=BB19_123 Depth=2
	ds_write_b64 v14, v[12:13]
; %bb.125:                              ;   in Loop: Header=BB19_123 Depth=2
	s_or_b64 exec, exec, s[0:1]
	s_and_saveexec_b64 s[12:13], vcc
	s_cbranch_execz .LBB19_122
; %bb.126:                              ;   in Loop: Header=BB19_123 Depth=2
	v_pk_add_f32 v[14:15], v[12:13], 0 neg_lo:[1,1] neg_hi:[1,1]
	s_mov_b64 s[14:15], 0
	v_pk_mov_b32 v[14:15], v[12:13], v[14:15] op_sel:[1,0]
	v_mov_b32_e32 v22, v17
	v_mov_b32_e32 v23, v21
	;; [unrolled: 1-line block ×3, first 2 shown]
.LBB19_127:                             ;   Parent Loop BB19_106 Depth=1
                                        ;     Parent Loop BB19_123 Depth=2
                                        ; =>    This Inner Loop Header: Depth=3
	ds_read_b64 v[26:27], v22
	ds_read_b64 v[28:29], v23
	v_add_u32_e32 v24, 1, v24
	v_cmp_le_i32_e64 s[0:1], s31, v24
	s_or_b64 s[14:15], s[0:1], s[14:15]
	v_add_u32_e32 v22, 0x208, v22
	s_waitcnt lgkmcnt(0)
	v_pk_fma_f32 v[28:29], v[12:13], v[26:27], v[28:29] op_sel_hi:[1,0,1] neg_lo:[1,0,0] neg_hi:[1,0,0]
	s_nop 0
	v_pk_fma_f32 v[26:27], v[14:15], v[26:27], v[28:29] op_sel:[0,1,0]
	ds_write_b64 v23, v[26:27]
	v_add_u32_e32 v23, 0x208, v23
	s_andn2_b64 exec, exec, s[14:15]
	s_cbranch_execnz .LBB19_127
	s_branch .LBB19_122
.LBB19_128:                             ;   in Loop: Header=BB19_106 Depth=1
	s_or_b64 exec, exec, s[8:9]
	s_cbranch_execnz .LBB19_110
.LBB19_129:                             ;   in Loop: Header=BB19_106 Depth=1
	s_add_i32 s21, s17, 1
	s_mov_b64 s[42:43], -1
	v_add_u32_e32 v16, 0x210, v16
	s_cmp_eq_u32 s21, s31
	v_add_u32_e32 v17, 0x210, v17
	s_cbranch_scc1 .LBB19_132
.LBB19_130:                             ;   in Loop: Header=BB19_106 Depth=1
	s_mov_b32 s17, s21
	s_branch .LBB19_106
.LBB19_131:                             ;   in Loop: Header=BB19_106 Depth=1
	v_mov_b32_e32 v10, 0
	s_cbranch_execz .LBB19_115
	s_branch .LBB19_116
.LBB19_132:
	s_waitcnt lgkmcnt(0)
	s_and_saveexec_b64 s[4:5], s[2:3]
	s_cbranch_execz .LBB19_142
; %bb.133:
	s_mul_i32 s14, s44, s31
	v_bfe_u32 v1, v0, 10, 10
	s_cmp_lg_u32 s46, 0
	v_add_u32_e32 v2, s14, v4
	s_movk_i32 s6, 0x208
	v_cmp_gt_u32_e64 s[0:1], s31, v1
	s_cselect_b64 s[2:3], -1, 0
	v_mul_lo_u32 v6, s31, v2
	s_lshl_b32 s15, s31, 6
	v_mad_u32_u24 v5, v1, s6, v5
	s_mov_b64 s[6:7], 0
	s_branch .LBB19_135
.LBB19_134:                             ;   in Loop: Header=BB19_135 Depth=1
	s_or_b64 exec, exec, s[8:9]
	v_add_u32_e32 v4, 64, v4
	v_cmp_le_i32_e32 vcc, s31, v4
	v_add_u32_e32 v6, s15, v6
	s_or_b64 s[6:7], vcc, s[6:7]
	v_add_u32_e32 v5, 0x200, v5
	s_andn2_b64 exec, exec, s[6:7]
	s_cbranch_execz .LBB19_142
.LBB19_135:                             ; =>This Loop Header: Depth=1
                                        ;     Child Loop BB19_138 Depth 2
	s_and_saveexec_b64 s[8:9], s[0:1]
	s_cbranch_execz .LBB19_134
; %bb.136:                              ;   in Loop: Header=BB19_135 Depth=1
	s_mov_b64 s[10:11], 0
	v_mov_b32_e32 v7, v5
	v_mov_b32_e32 v8, v1
	s_branch .LBB19_138
.LBB19_137:                             ;   in Loop: Header=BB19_138 Depth=2
	ds_read_b64 v[10:11], v7
	v_add_u32_e32 v8, 1, v8
	v_ashrrev_i32_e32 v3, 31, v2
	v_cmp_le_i32_e32 vcc, s31, v8
	v_lshl_add_u64 v[2:3], v[2:3], 3, s[24:25]
	s_or_b64 s[10:11], vcc, s[10:11]
	v_add_u32_e32 v7, 0x208, v7
	s_waitcnt lgkmcnt(0)
	global_store_dwordx2 v[2:3], v[10:11], off
	s_andn2_b64 exec, exec, s[10:11]
	s_cbranch_execz .LBB19_134
.LBB19_138:                             ;   Parent Loop BB19_135 Depth=1
                                        ; =>  This Inner Loop Header: Depth=2
	s_and_b64 vcc, exec, s[2:3]
	s_cbranch_vccz .LBB19_140
; %bb.139:                              ;   in Loop: Header=BB19_138 Depth=2
	v_add_u32_e32 v2, s14, v8
	v_mad_u64_u32 v[2:3], s[12:13], v2, s31, v[4:5]
	s_cbranch_execnz .LBB19_137
	s_branch .LBB19_141
.LBB19_140:                             ;   in Loop: Header=BB19_138 Depth=2
                                        ; implicit-def: $vgpr2
.LBB19_141:                             ;   in Loop: Header=BB19_138 Depth=2
	v_add_u32_e32 v2, v6, v8
	s_branch .LBB19_137
.LBB19_142:
	s_or_b64 exec, exec, s[4:5]
.LBB19_143:
	s_add_i32 s20, s44, 1
	s_cmp_ge_i32 s20, s33
	s_cbranch_scc1 .LBB19_178
; %bb.144:
	v_and_b32_e32 v1, 0x3ff, v0
	s_mul_i32 s6, s31, s20
	v_add_u32_e32 v2, s6, v1
	v_bfe_u32 v6, v0, 10, 10
	s_mul_i32 s21, s44, s31
	v_mul_lo_u32 v8, s31, v2
	v_lshlrev_b32_e32 v2, 3, v1
	s_movk_i32 s26, 0x208
	s_cmp_lg_u32 s46, 0
	v_mad_u32_u24 v9, v6, s26, v2
	v_add_u32_e32 v2, s21, v6
	s_cselect_b64 s[10:11], -1, 0
	s_cmp_gt_i32 s31, 0
	v_mul_lo_u32 v2, s31, v2
	s_cselect_b64 s[4:5], -1, 0
	v_add_u32_e32 v10, s31, v2
	v_mul_u32_u24_e32 v2, 0x208, v1
	v_lshlrev_b32_e32 v3, 3, v6
	v_add3_u32 v11, v2, v3, 8
	v_cndmask_b32_e64 v2, 0, 1, s[4:5]
	v_cmp_ne_u32_e64 s[4:5], 1, v2
	v_cndmask_b32_e64 v2, 0, 1, s[10:11]
	v_cmp_gt_i32_e64 s[0:1], s31, v1
	v_cmp_gt_i32_e64 s[2:3], s31, v6
	v_add_u32_e32 v7, 1, v6
	s_mul_i32 s22, s31, s31
	s_lshl_b32 s23, s31, 6
	s_add_i32 s27, s31, 1
	v_cmp_ne_u32_e64 s[6:7], 1, v2
.LBB19_145:                             ; =>This Loop Header: Depth=1
                                        ;     Child Loop BB19_148 Depth 2
                                        ;       Child Loop BB19_151 Depth 3
                                        ;     Child Loop BB19_158 Depth 2
                                        ;       Child Loop BB19_161 Depth 3
                                        ;         Child Loop BB19_164 Depth 4
                                        ;     Child Loop BB19_169 Depth 2
                                        ;       Child Loop BB19_172 Depth 3
	s_mul_i32 s35, s20, s31
	s_and_saveexec_b64 s[8:9], s[0:1]
	s_cbranch_execz .LBB19_155
; %bb.146:                              ;   in Loop: Header=BB19_145 Depth=1
	s_mov_b64 s[12:13], 0
	v_mov_b32_e32 v3, v9
	v_mov_b32_e32 v12, v8
	;; [unrolled: 1-line block ×3, first 2 shown]
	s_branch .LBB19_148
.LBB19_147:                             ;   in Loop: Header=BB19_148 Depth=2
	s_or_b64 exec, exec, s[14:15]
	v_add_u32_e32 v2, 64, v2
	v_cmp_le_i32_e32 vcc, s31, v2
	v_add_u32_e32 v12, s23, v12
	s_or_b64 s[12:13], vcc, s[12:13]
	v_add_u32_e32 v3, 0x200, v3
	s_andn2_b64 exec, exec, s[12:13]
	s_cbranch_execz .LBB19_155
.LBB19_148:                             ;   Parent Loop BB19_145 Depth=1
                                        ; =>  This Loop Header: Depth=2
                                        ;       Child Loop BB19_151 Depth 3
	s_and_saveexec_b64 s[14:15], s[2:3]
	s_cbranch_execz .LBB19_147
; %bb.149:                              ;   in Loop: Header=BB19_148 Depth=2
	s_mov_b64 s[16:17], 0
	v_mov_b32_e32 v13, v3
	v_mov_b32_e32 v14, v6
	s_branch .LBB19_151
.LBB19_150:                             ;   in Loop: Header=BB19_151 Depth=3
	v_ashrrev_i32_e32 v5, 31, v4
	v_lshl_add_u64 v[4:5], v[4:5], 3, s[24:25]
	global_load_dwordx2 v[4:5], v[4:5], off
	v_add_u32_e32 v14, 1, v14
	v_cmp_le_i32_e32 vcc, s31, v14
	s_or_b64 s[16:17], vcc, s[16:17]
	s_waitcnt vmcnt(0)
	ds_write_b64 v13, v[4:5]
	v_add_u32_e32 v13, 0x208, v13
	s_andn2_b64 exec, exec, s[16:17]
	s_cbranch_execz .LBB19_147
.LBB19_151:                             ;   Parent Loop BB19_145 Depth=1
                                        ;     Parent Loop BB19_148 Depth=2
                                        ; =>    This Inner Loop Header: Depth=3
	s_and_b64 vcc, exec, s[10:11]
	s_cbranch_vccz .LBB19_153
; %bb.152:                              ;   in Loop: Header=BB19_151 Depth=3
	v_add_u32_e32 v4, s35, v14
	v_mad_u64_u32 v[4:5], s[18:19], v4, s31, v[2:3]
	s_cbranch_execnz .LBB19_150
	s_branch .LBB19_154
.LBB19_153:                             ;   in Loop: Header=BB19_151 Depth=3
                                        ; implicit-def: $vgpr4
.LBB19_154:                             ;   in Loop: Header=BB19_151 Depth=3
	v_add_u32_e32 v4, v12, v14
	s_branch .LBB19_150
.LBB19_155:                             ;   in Loop: Header=BB19_145 Depth=1
	s_or_b64 exec, exec, s[8:9]
	s_and_b64 vcc, exec, s[4:5]
	s_waitcnt lgkmcnt(0)
	s_cbranch_vccnz .LBB19_166
; %bb.156:                              ;   in Loop: Header=BB19_145 Depth=1
	s_mov_b32 s36, 0
	v_mov_b32_e32 v4, v11
	v_mov_b32_e32 v5, v10
	s_branch .LBB19_158
.LBB19_157:                             ;   in Loop: Header=BB19_158 Depth=2
	s_or_b64 exec, exec, s[12:13]
	s_add_i32 s36, s36, 1
	v_add_u32_e32 v5, s27, v5
	s_cmp_eq_u32 s36, s31
	v_add_u32_e32 v4, 8, v4
	s_cbranch_scc1 .LBB19_166
.LBB19_158:                             ;   Parent Loop BB19_145 Depth=1
                                        ; =>  This Loop Header: Depth=2
                                        ;       Child Loop BB19_161 Depth 3
                                        ;         Child Loop BB19_164 Depth 4
	s_and_saveexec_b64 s[12:13], s[0:1]
	s_cbranch_execz .LBB19_157
; %bb.159:                              ;   in Loop: Header=BB19_158 Depth=2
	v_add_u32_e32 v12, s36, v7
	s_add_i32 s37, s36, s21
	v_cmp_gt_i32_e64 s[8:9], s31, v12
	s_mul_i32 s37, s37, s31
	s_mov_b64 s[14:15], 0
	v_mov_b32_e32 v13, v4
	v_mov_b32_e32 v14, v1
	s_branch .LBB19_161
.LBB19_160:                             ;   in Loop: Header=BB19_161 Depth=3
	s_or_b64 exec, exec, s[16:17]
	v_add_u32_e32 v14, 64, v14
	v_cmp_le_i32_e32 vcc, s31, v14
	s_or_b64 s[14:15], vcc, s[14:15]
	v_add_u32_e32 v13, 0x8200, v13
	s_andn2_b64 exec, exec, s[14:15]
	s_cbranch_execz .LBB19_157
.LBB19_161:                             ;   Parent Loop BB19_145 Depth=1
                                        ;     Parent Loop BB19_158 Depth=2
                                        ; =>    This Loop Header: Depth=3
                                        ;         Child Loop BB19_164 Depth 4
	s_and_saveexec_b64 s[16:17], s[8:9]
	s_cbranch_execz .LBB19_160
; %bb.162:                              ;   in Loop: Header=BB19_161 Depth=3
	v_mul_lo_u32 v2, v14, s26
	v_lshl_add_u32 v15, s36, 3, v2
	s_mov_b64 s[18:19], 0
	v_mov_b32_e32 v16, v13
	v_mov_b32_e32 v17, v5
	;; [unrolled: 1-line block ×3, first 2 shown]
	s_branch .LBB19_164
.LBB19_163:                             ;   in Loop: Header=BB19_164 Depth=4
	v_ashrrev_i32_e32 v3, 31, v2
	v_lshl_add_u64 v[2:3], v[2:3], 3, s[24:25]
	global_load_dwordx2 v[2:3], v[2:3], off
	ds_read_b64 v[20:21], v15
	ds_read_b64 v[22:23], v16
	v_add_u32_e32 v18, 1, v18
	v_cmp_le_i32_e32 vcc, s31, v18
	v_add_u32_e32 v17, s31, v17
	s_or_b64 s[18:19], vcc, s[18:19]
	s_waitcnt vmcnt(0)
	v_pk_add_f32 v[24:25], v[2:3], 0 neg_lo:[1,1] neg_hi:[1,1]
	s_waitcnt lgkmcnt(0)
	v_pk_fma_f32 v[22:23], v[2:3], v[20:21], v[22:23] op_sel_hi:[1,0,1] neg_lo:[1,0,0] neg_hi:[1,0,0]
	v_pk_mov_b32 v[2:3], v[2:3], v[24:25] op_sel:[1,0]
	s_nop 0
	v_pk_fma_f32 v[2:3], v[2:3], v[20:21], v[22:23] op_sel:[0,1,0]
	ds_write_b64 v16, v[2:3]
	v_add_u32_e32 v16, 8, v16
	s_andn2_b64 exec, exec, s[18:19]
	s_cbranch_execz .LBB19_160
.LBB19_164:                             ;   Parent Loop BB19_145 Depth=1
                                        ;     Parent Loop BB19_158 Depth=2
                                        ;       Parent Loop BB19_161 Depth=3
                                        ; =>      This Inner Loop Header: Depth=4
	s_and_b64 vcc, exec, s[6:7]
	v_mov_b32_e32 v2, v17
	s_cbranch_vccnz .LBB19_163
; %bb.165:                              ;   in Loop: Header=BB19_164 Depth=4
	v_add_u32_e32 v2, s37, v18
	s_branch .LBB19_163
.LBB19_166:                             ;   in Loop: Header=BB19_145 Depth=1
	s_waitcnt lgkmcnt(0)
	s_and_saveexec_b64 s[8:9], s[0:1]
	s_cbranch_execz .LBB19_176
; %bb.167:                              ;   in Loop: Header=BB19_145 Depth=1
	s_mov_b64 s[12:13], 0
	v_mov_b32_e32 v3, v9
	v_mov_b32_e32 v12, v8
	;; [unrolled: 1-line block ×3, first 2 shown]
	s_branch .LBB19_169
.LBB19_168:                             ;   in Loop: Header=BB19_169 Depth=2
	s_or_b64 exec, exec, s[14:15]
	v_add_u32_e32 v2, 64, v2
	v_cmp_le_i32_e32 vcc, s31, v2
	v_add_u32_e32 v12, s23, v12
	s_or_b64 s[12:13], vcc, s[12:13]
	v_add_u32_e32 v3, 0x200, v3
	s_andn2_b64 exec, exec, s[12:13]
	s_cbranch_execz .LBB19_176
.LBB19_169:                             ;   Parent Loop BB19_145 Depth=1
                                        ; =>  This Loop Header: Depth=2
                                        ;       Child Loop BB19_172 Depth 3
	s_and_saveexec_b64 s[14:15], s[2:3]
	s_cbranch_execz .LBB19_168
; %bb.170:                              ;   in Loop: Header=BB19_169 Depth=2
	s_mov_b64 s[16:17], 0
	v_mov_b32_e32 v13, v3
	v_mov_b32_e32 v14, v6
	s_branch .LBB19_172
.LBB19_171:                             ;   in Loop: Header=BB19_172 Depth=3
	ds_read_b64 v[16:17], v13
	v_add_u32_e32 v14, 1, v14
	v_ashrrev_i32_e32 v5, 31, v4
	v_cmp_le_i32_e32 vcc, s31, v14
	v_lshl_add_u64 v[4:5], v[4:5], 3, s[24:25]
	s_or_b64 s[16:17], vcc, s[16:17]
	v_add_u32_e32 v13, 0x208, v13
	s_waitcnt lgkmcnt(0)
	global_store_dwordx2 v[4:5], v[16:17], off
	s_andn2_b64 exec, exec, s[16:17]
	s_cbranch_execz .LBB19_168
.LBB19_172:                             ;   Parent Loop BB19_145 Depth=1
                                        ;     Parent Loop BB19_169 Depth=2
                                        ; =>    This Inner Loop Header: Depth=3
	s_and_b64 vcc, exec, s[10:11]
	s_cbranch_vccz .LBB19_174
; %bb.173:                              ;   in Loop: Header=BB19_172 Depth=3
	v_add_u32_e32 v4, s35, v14
	v_mad_u64_u32 v[4:5], s[18:19], v4, s31, v[2:3]
	s_cbranch_execnz .LBB19_171
	s_branch .LBB19_175
.LBB19_174:                             ;   in Loop: Header=BB19_172 Depth=3
                                        ; implicit-def: $vgpr4
.LBB19_175:                             ;   in Loop: Header=BB19_172 Depth=3
	v_add_u32_e32 v4, v12, v14
	s_branch .LBB19_171
.LBB19_176:                             ;   in Loop: Header=BB19_145 Depth=1
	s_or_b64 exec, exec, s[8:9]
; %bb.177:                              ;   in Loop: Header=BB19_145 Depth=1
	s_add_i32 s20, s20, 1
	s_cmp_ge_i32 s20, s33
	v_add_u32_e32 v8, s22, v8
	s_cbranch_scc0 .LBB19_145
.LBB19_178:
	v_and_b32_e32 v0, 0xfffff, v0
	v_cmp_eq_u32_e32 vcc, 0, v0
	s_and_saveexec_b64 s[0:1], vcc
	s_cbranch_execz .LBB19_182
; %bb.179:
	s_add_u32 s0, s28, s40
	s_addc_u32 s1, s29, s41
	v_mov_b32_e32 v0, 0
	v_mov_b32_e32 v1, 1
	s_andn2_b64 vcc, exec, s[42:43]
	buffer_wbl2 sc1
	s_waitcnt vmcnt(0)
	global_store_dword v0, v1, s[0:1] sc1
	s_cbranch_vccnz .LBB19_182
; %bb.180:
	v_mbcnt_lo_u32_b32 v0, exec_lo, 0
	v_mbcnt_hi_u32_b32 v0, exec_hi, v0
	v_cmp_eq_u32_e32 vcc, 0, v0
	s_and_b64 exec, exec, vcc
	s_cbranch_execz .LBB19_182
; %bb.181:
	s_add_i32 s0, s30, s34
	v_mov_b32_e32 v0, 0
	v_mov_b32_e32 v1, s0
	global_atomic_smin v0, v1, s[38:39]
.LBB19_182:
	s_endpgm
	.section	.rodata,"a",@progbits
	.p2align	6, 0x0
	.amdhsa_kernel _ZN9rocsparseL13bsrilu0_33_64ILj64ELj64ELj64E21rocsparse_complex_numIfEEEv20rocsparse_direction_iPKiS5_PT2_S5_iPiS5_S8_21rocsparse_index_base_imNS_24const_host_device_scalarIfEENSA_IdEENSA_IS6_EEb
		.amdhsa_group_segment_fixed_size 33280
		.amdhsa_private_segment_fixed_size 0
		.amdhsa_kernarg_size 116
		.amdhsa_user_sgpr_count 2
		.amdhsa_user_sgpr_dispatch_ptr 0
		.amdhsa_user_sgpr_queue_ptr 0
		.amdhsa_user_sgpr_kernarg_segment_ptr 1
		.amdhsa_user_sgpr_dispatch_id 0
		.amdhsa_user_sgpr_kernarg_preload_length 0
		.amdhsa_user_sgpr_kernarg_preload_offset 0
		.amdhsa_user_sgpr_private_segment_size 0
		.amdhsa_uses_dynamic_stack 0
		.amdhsa_enable_private_segment 0
		.amdhsa_system_sgpr_workgroup_id_x 1
		.amdhsa_system_sgpr_workgroup_id_y 0
		.amdhsa_system_sgpr_workgroup_id_z 0
		.amdhsa_system_sgpr_workgroup_info 0
		.amdhsa_system_vgpr_workitem_id 1
		.amdhsa_next_free_vgpr 257
		.amdhsa_next_free_sgpr 96
		.amdhsa_accum_offset 44
		.amdhsa_reserve_vcc 1
		.amdhsa_float_round_mode_32 0
		.amdhsa_float_round_mode_16_64 0
		.amdhsa_float_denorm_mode_32 3
		.amdhsa_float_denorm_mode_16_64 3
		.amdhsa_dx10_clamp 1
		.amdhsa_ieee_mode 1
		.amdhsa_fp16_overflow 0
		.amdhsa_tg_split 0
		.amdhsa_exception_fp_ieee_invalid_op 0
		.amdhsa_exception_fp_denorm_src 0
		.amdhsa_exception_fp_ieee_div_zero 0
		.amdhsa_exception_fp_ieee_overflow 0
		.amdhsa_exception_fp_ieee_underflow 0
		.amdhsa_exception_fp_ieee_inexact 0
		.amdhsa_exception_int_div_zero 0
	.end_amdhsa_kernel
	.section	.text._ZN9rocsparseL13bsrilu0_33_64ILj64ELj64ELj64E21rocsparse_complex_numIfEEEv20rocsparse_direction_iPKiS5_PT2_S5_iPiS5_S8_21rocsparse_index_base_imNS_24const_host_device_scalarIfEENSA_IdEENSA_IS6_EEb,"axG",@progbits,_ZN9rocsparseL13bsrilu0_33_64ILj64ELj64ELj64E21rocsparse_complex_numIfEEEv20rocsparse_direction_iPKiS5_PT2_S5_iPiS5_S8_21rocsparse_index_base_imNS_24const_host_device_scalarIfEENSA_IdEENSA_IS6_EEb,comdat
.Lfunc_end19:
	.size	_ZN9rocsparseL13bsrilu0_33_64ILj64ELj64ELj64E21rocsparse_complex_numIfEEEv20rocsparse_direction_iPKiS5_PT2_S5_iPiS5_S8_21rocsparse_index_base_imNS_24const_host_device_scalarIfEENSA_IdEENSA_IS6_EEb, .Lfunc_end19-_ZN9rocsparseL13bsrilu0_33_64ILj64ELj64ELj64E21rocsparse_complex_numIfEEEv20rocsparse_direction_iPKiS5_PT2_S5_iPiS5_S8_21rocsparse_index_base_imNS_24const_host_device_scalarIfEENSA_IdEENSA_IS6_EEb
                                        ; -- End function
	.set _ZN9rocsparseL13bsrilu0_33_64ILj64ELj64ELj64E21rocsparse_complex_numIfEEEv20rocsparse_direction_iPKiS5_PT2_S5_iPiS5_S8_21rocsparse_index_base_imNS_24const_host_device_scalarIfEENSA_IdEENSA_IS6_EEb.num_vgpr, 43
	.set _ZN9rocsparseL13bsrilu0_33_64ILj64ELj64ELj64E21rocsparse_complex_numIfEEEv20rocsparse_direction_iPKiS5_PT2_S5_iPiS5_S8_21rocsparse_index_base_imNS_24const_host_device_scalarIfEENSA_IdEENSA_IS6_EEb.num_agpr, 0
	.set _ZN9rocsparseL13bsrilu0_33_64ILj64ELj64ELj64E21rocsparse_complex_numIfEEEv20rocsparse_direction_iPKiS5_PT2_S5_iPiS5_S8_21rocsparse_index_base_imNS_24const_host_device_scalarIfEENSA_IdEENSA_IS6_EEb.numbered_sgpr, 68
	.set _ZN9rocsparseL13bsrilu0_33_64ILj64ELj64ELj64E21rocsparse_complex_numIfEEEv20rocsparse_direction_iPKiS5_PT2_S5_iPiS5_S8_21rocsparse_index_base_imNS_24const_host_device_scalarIfEENSA_IdEENSA_IS6_EEb.num_named_barrier, 0
	.set _ZN9rocsparseL13bsrilu0_33_64ILj64ELj64ELj64E21rocsparse_complex_numIfEEEv20rocsparse_direction_iPKiS5_PT2_S5_iPiS5_S8_21rocsparse_index_base_imNS_24const_host_device_scalarIfEENSA_IdEENSA_IS6_EEb.private_seg_size, 0
	.set _ZN9rocsparseL13bsrilu0_33_64ILj64ELj64ELj64E21rocsparse_complex_numIfEEEv20rocsparse_direction_iPKiS5_PT2_S5_iPiS5_S8_21rocsparse_index_base_imNS_24const_host_device_scalarIfEENSA_IdEENSA_IS6_EEb.uses_vcc, 1
	.set _ZN9rocsparseL13bsrilu0_33_64ILj64ELj64ELj64E21rocsparse_complex_numIfEEEv20rocsparse_direction_iPKiS5_PT2_S5_iPiS5_S8_21rocsparse_index_base_imNS_24const_host_device_scalarIfEENSA_IdEENSA_IS6_EEb.uses_flat_scratch, 0
	.set _ZN9rocsparseL13bsrilu0_33_64ILj64ELj64ELj64E21rocsparse_complex_numIfEEEv20rocsparse_direction_iPKiS5_PT2_S5_iPiS5_S8_21rocsparse_index_base_imNS_24const_host_device_scalarIfEENSA_IdEENSA_IS6_EEb.has_dyn_sized_stack, 0
	.set _ZN9rocsparseL13bsrilu0_33_64ILj64ELj64ELj64E21rocsparse_complex_numIfEEEv20rocsparse_direction_iPKiS5_PT2_S5_iPiS5_S8_21rocsparse_index_base_imNS_24const_host_device_scalarIfEENSA_IdEENSA_IS6_EEb.has_recursion, 0
	.set _ZN9rocsparseL13bsrilu0_33_64ILj64ELj64ELj64E21rocsparse_complex_numIfEEEv20rocsparse_direction_iPKiS5_PT2_S5_iPiS5_S8_21rocsparse_index_base_imNS_24const_host_device_scalarIfEENSA_IdEENSA_IS6_EEb.has_indirect_call, 0
	.section	.AMDGPU.csdata,"",@progbits
; Kernel info:
; codeLenInByte = 5224
; TotalNumSgprs: 74
; NumVgprs: 43
; NumAgprs: 0
; TotalNumVgprs: 43
; ScratchSize: 0
; MemoryBound: 0
; FloatMode: 240
; IeeeMode: 1
; LDSByteSize: 33280 bytes/workgroup (compile time only)
; SGPRBlocks: 12
; VGPRBlocks: 32
; NumSGPRsForWavesPerEU: 102
; NumVGPRsForWavesPerEU: 257
; AccumOffset: 44
; Occupancy: 1
; WaveLimiterHint : 1
; COMPUTE_PGM_RSRC2:SCRATCH_EN: 0
; COMPUTE_PGM_RSRC2:USER_SGPR: 2
; COMPUTE_PGM_RSRC2:TRAP_HANDLER: 0
; COMPUTE_PGM_RSRC2:TGID_X_EN: 1
; COMPUTE_PGM_RSRC2:TGID_Y_EN: 0
; COMPUTE_PGM_RSRC2:TGID_Z_EN: 0
; COMPUTE_PGM_RSRC2:TIDIG_COMP_CNT: 1
; COMPUTE_PGM_RSRC3_GFX90A:ACCUM_OFFSET: 10
; COMPUTE_PGM_RSRC3_GFX90A:TG_SPLIT: 0
	.section	.text._ZN9rocsparseL15bsrilu0_generalILj128ELj64ELb0E21rocsparse_complex_numIfEEEv20rocsparse_direction_iPKiS5_PT2_S5_iPiS5_S8_21rocsparse_index_base_imNS_24const_host_device_scalarIfEENSA_IdEENSA_IS6_EEb,"axG",@progbits,_ZN9rocsparseL15bsrilu0_generalILj128ELj64ELb0E21rocsparse_complex_numIfEEEv20rocsparse_direction_iPKiS5_PT2_S5_iPiS5_S8_21rocsparse_index_base_imNS_24const_host_device_scalarIfEENSA_IdEENSA_IS6_EEb,comdat
	.globl	_ZN9rocsparseL15bsrilu0_generalILj128ELj64ELb0E21rocsparse_complex_numIfEEEv20rocsparse_direction_iPKiS5_PT2_S5_iPiS5_S8_21rocsparse_index_base_imNS_24const_host_device_scalarIfEENSA_IdEENSA_IS6_EEb ; -- Begin function _ZN9rocsparseL15bsrilu0_generalILj128ELj64ELb0E21rocsparse_complex_numIfEEEv20rocsparse_direction_iPKiS5_PT2_S5_iPiS5_S8_21rocsparse_index_base_imNS_24const_host_device_scalarIfEENSA_IdEENSA_IS6_EEb
	.p2align	8
	.type	_ZN9rocsparseL15bsrilu0_generalILj128ELj64ELb0E21rocsparse_complex_numIfEEEv20rocsparse_direction_iPKiS5_PT2_S5_iPiS5_S8_21rocsparse_index_base_imNS_24const_host_device_scalarIfEENSA_IdEENSA_IS6_EEb,@function
_ZN9rocsparseL15bsrilu0_generalILj128ELj64ELb0E21rocsparse_complex_numIfEEEv20rocsparse_direction_iPKiS5_PT2_S5_iPiS5_S8_21rocsparse_index_base_imNS_24const_host_device_scalarIfEENSA_IdEENSA_IS6_EEb: ; @_ZN9rocsparseL15bsrilu0_generalILj128ELj64ELb0E21rocsparse_complex_numIfEEEv20rocsparse_direction_iPKiS5_PT2_S5_iPiS5_S8_21rocsparse_index_base_imNS_24const_host_device_scalarIfEENSA_IdEENSA_IS6_EEb
; %bb.0:
	s_load_dword s3, s[0:1], 0x70
	s_load_dwordx2 s[34:35], s[0:1], 0x48
	s_load_dwordx8 s[24:31], s[0:1], 0x50
	s_waitcnt lgkmcnt(0)
	s_bitcmp1_b32 s3, 0
	s_cselect_b64 s[4:5], -1, 0
	s_cmp_eq_u32 s35, 0
	s_cselect_b64 s[12:13], -1, 0
	s_cmp_lg_u32 s35, 0
	s_cselect_b64 s[6:7], -1, 0
	s_or_b64 s[14:15], s[12:13], s[4:5]
	s_xor_b64 s[8:9], s[14:15], -1
	s_and_b64 s[10:11], s[12:13], exec
	s_cselect_b32 s11, 0, s29
	s_cselect_b32 s10, 0, s28
	s_and_b64 vcc, exec, s[14:15]
	s_cbranch_vccnz .LBB20_2
; %bb.1:
	s_load_dword s3, s[26:27], 0x0
	s_mov_b64 s[10:11], s[28:29]
	s_waitcnt lgkmcnt(0)
	v_mov_b32_e32 v25, s3
	s_andn2_b64 vcc, exec, s[8:9]
	v_mov_b64_e32 v[6:7], s[10:11]
	s_cbranch_vccz .LBB20_3
	s_branch .LBB20_4
.LBB20_2:
	v_mov_b32_e32 v1, s26
	v_cndmask_b32_e64 v25, v1, 0, s[12:13]
	s_andn2_b64 vcc, exec, s[8:9]
	v_mov_b64_e32 v[6:7], s[10:11]
	s_cbranch_vccnz .LBB20_4
.LBB20_3:
	v_mov_b64_e32 v[2:3], s[28:29]
	flat_load_dwordx2 v[6:7], v[2:3]
.LBB20_4:
	s_mov_b32 s35, 0
	v_cndmask_b32_e64 v1, 0, 1, s[6:7]
	v_cmp_ne_u32_e64 s[14:15], 1, v1
	s_andn2_b64 vcc, exec, s[6:7]
	s_mov_b32 s60, s35
	s_cbranch_vccnz .LBB20_10
; %bb.5:
	s_xor_b64 s[6:7], s[4:5], -1
	v_cndmask_b32_e64 v1, 0, 1, s[6:7]
	v_cmp_ne_u32_e64 s[4:5], 1, v1
	s_andn2_b64 vcc, exec, s[6:7]
	s_mov_b32 s35, s30
	s_cbranch_vccnz .LBB20_7
; %bb.6:
	s_load_dword s35, s[30:31], 0x0
.LBB20_7:
	s_and_b64 vcc, exec, s[4:5]
	s_cbranch_vccnz .LBB20_9
; %bb.8:
	s_load_dword s31, s[30:31], 0x4
.LBB20_9:
	s_waitcnt lgkmcnt(0)
	s_mov_b32 s60, s31
.LBB20_10:
	s_load_dwordx2 s[36:37], s[0:1], 0x0
	s_lshl_b32 s2, s2, 1
	v_lshrrev_b32_e32 v1, 6, v0
	s_and_b32 s2, s2, 0x3fffffe
	v_or_b32_e32 v1, s2, v1
	s_waitcnt lgkmcnt(0)
	v_cmp_gt_i32_e32 vcc, s37, v1
	s_and_saveexec_b64 s[2:3], vcc
	s_cbranch_execz .LBB20_149
; %bb.11:
	s_load_dwordx4 s[28:31], s[0:1], 0x30
	s_load_dwordx2 s[26:27], s[0:1], 0x40
	v_lshlrev_b32_e32 v1, 2, v1
	s_load_dwordx8 s[16:23], s[0:1], 0x8
	v_and_b32_e32 v0, 63, v0
	s_waitcnt lgkmcnt(0)
	global_load_dword v2, v1, s[30:31]
	s_mov_b64 s[2:3], -1
	s_waitcnt vmcnt(0)
	v_ashrrev_i32_e32 v3, 31, v2
	v_lshl_add_u64 v[4:5], v[2:3], 2, s[22:23]
	global_load_dword v4, v[4:5], off
	s_waitcnt vmcnt(0)
	v_cmp_ne_u32_e32 vcc, -1, v4
	s_and_saveexec_b64 s[30:31], vcc
	s_cbranch_execz .LBB20_143
; %bb.12:
	v_lshl_add_u64 v[8:9], v[2:3], 2, s[16:17]
	global_load_dwordx2 v[8:9], v[8:9], off
	s_load_dword s33, s[0:1], 0x28
	s_mov_b64 s[6:7], 0
	s_waitcnt vmcnt(0)
	v_subrev_u32_e32 v8, s34, v8
	v_subrev_u32_e32 v1, s34, v9
	v_cmp_lt_i32_e32 vcc, v8, v4
	s_and_saveexec_b64 s[38:39], vcc
	s_cbranch_execz .LBB20_78
; %bb.13:
	s_waitcnt lgkmcnt(0)
	s_cmp_gt_i32 s33, 0
	s_cselect_b64 s[0:1], -1, 0
	v_add_u32_e32 v10, v8, v0
	v_mad_u64_u32 v[14:15], s[8:9], s33, v8, v[0:1]
	v_cndmask_b32_e64 v9, 0, 1, s[0:1]
	s_cmp_lg_u32 s36, 0
	v_ashrrev_i32_e32 v11, 31, v10
	v_mul_lo_u32 v5, s33, v14
	v_cmp_ne_u32_e64 s[8:9], 1, v9
	v_mbcnt_lo_u32_b32 v9, -1, 0
	s_cselect_b64 s[40:41], -1, 0
	v_cmp_gt_i32_e64 s[2:3], s33, v0
	v_cmp_le_i32_e64 s[4:5], s33, v0
	v_cmp_lt_i32_e64 s[6:7], v10, v1
	s_add_i32 s37, s37, 1
	v_lshl_add_u64 v[12:13], v[10:11], 2, s[18:19]
	s_mul_i32 s61, s33, s33
	s_add_i32 s62, s33, 1
	v_add_u32_e32 v11, 1, v5
	s_lshl_b32 s63, s33, 6
	s_add_i32 s64, s33, -1
	s_mov_b64 s[48:49], 0
	s_mov_b64 s[42:43], 0
	v_mbcnt_hi_u32_b32 v36, -1, v9
                                        ; implicit-def: $sgpr44_sgpr45
                                        ; implicit-def: $sgpr46_sgpr47
	s_branch .LBB20_16
.LBB20_14:                              ;   in Loop: Header=BB20_16 Depth=1
	s_or_b64 exec, exec, s[0:1]
	s_andn2_b64 s[0:1], s[46:47], exec
	s_and_b64 s[12:13], s[48:49], exec
	s_or_b64 s[46:47], s[0:1], s[12:13]
.LBB20_15:                              ;   in Loop: Header=BB20_16 Depth=1
	s_or_b64 exec, exec, s[50:51]
	v_add_u32_e32 v8, 1, v8
	v_cmp_ge_i32_e32 vcc, v8, v4
	s_xor_b64 s[0:1], s[10:11], -1
	s_or_b64 s[0:1], s[0:1], vcc
	s_and_b64 s[0:1], exec, s[0:1]
	s_or_b64 s[42:43], s[0:1], s[42:43]
	s_andn2_b64 s[0:1], s[44:45], exec
	s_and_b64 s[10:11], s[46:47], exec
	v_add_u32_e32 v11, s61, v11
	v_add_u32_e32 v5, s61, v5
	s_or_b64 s[44:45], s[0:1], s[10:11]
	s_mov_b64 s[48:49], s[46:47]
	s_andn2_b64 exec, exec, s[42:43]
	s_cbranch_execz .LBB20_77
.LBB20_16:                              ; =>This Loop Header: Depth=1
                                        ;     Child Loop BB20_19 Depth 2
                                        ;     Child Loop BB20_24 Depth 2
                                        ;       Child Loop BB20_29 Depth 3
                                        ;         Child Loop BB20_38 Depth 4
                                        ;     Child Loop BB20_51 Depth 2
                                        ;       Child Loop BB20_56 Depth 3
                                        ;       Child Loop BB20_63 Depth 3
                                        ;         Child Loop BB20_65 Depth 4
                                        ;           Child Loop BB20_67 Depth 5
	v_ashrrev_i32_e32 v9, 31, v8
	v_lshl_add_u64 v[14:15], v[8:9], 2, s[18:19]
	global_load_dword v9, v[14:15], off
	s_or_b64 s[46:47], s[46:47], exec
	s_waitcnt vmcnt(0)
	v_subrev_u32_e32 v14, s34, v9
	v_ashrrev_i32_e32 v15, 31, v14
	s_waitcnt lgkmcnt(0)
	v_lshl_add_u64 v[16:17], v[14:15], 2, s[22:23]
	global_load_dword v17, v[16:17], off
	s_waitcnt vmcnt(0)
	v_cmp_ne_u32_e64 s[10:11], -1, v17
	s_and_saveexec_b64 s[50:51], s[10:11]
	s_cbranch_execz .LBB20_15
; %bb.17:                               ;   in Loop: Header=BB20_16 Depth=1
	v_lshlrev_b64 v[14:15], 2, v[14:15]
	v_lshl_add_u64 v[18:19], s[16:17], 0, v[14:15]
	v_lshl_add_u64 v[14:15], s[28:29], 0, v[14:15]
	global_load_dword v37, v[18:19], off offset:4
	global_load_dword v9, v[14:15], off sc1
	s_waitcnt vmcnt(0)
	v_cmp_eq_u32_e32 vcc, 0, v9
	s_and_saveexec_b64 s[0:1], vcc
	s_cbranch_execz .LBB20_20
; %bb.18:                               ;   in Loop: Header=BB20_16 Depth=1
	s_mov_b64 s[12:13], 0
.LBB20_19:                              ;   Parent Loop BB20_16 Depth=1
                                        ; =>  This Inner Loop Header: Depth=2
	global_load_dword v9, v[14:15], off sc1
	s_waitcnt vmcnt(0)
	v_cmp_ne_u32_e32 vcc, 0, v9
	s_or_b64 s[12:13], vcc, s[12:13]
	s_andn2_b64 exec, exec, s[12:13]
	s_cbranch_execnz .LBB20_19
.LBB20_20:                              ;   in Loop: Header=BB20_16 Depth=1
	s_or_b64 exec, exec, s[0:1]
	s_and_b64 vcc, exec, s[8:9]
	v_mul_lo_u32 v9, v8, s33
	buffer_inv sc1
	s_cbranch_vccnz .LBB20_47
; %bb.21:                               ;   in Loop: Header=BB20_16 Depth=1
	v_mad_u64_u32 v[14:15], s[0:1], s61, v17, 1
	v_mul_lo_u32 v38, v17, s33
	v_mov_b32_e32 v16, 0
	s_mov_b64 s[52:53], 0
	s_mov_b32 s65, s64
	v_mov_b32_e32 v15, v11
	s_branch .LBB20_24
.LBB20_22:                              ;   in Loop: Header=BB20_24 Depth=2
	s_or_b64 exec, exec, s[56:57]
	v_mov_b32_e32 v16, v39
.LBB20_23:                              ;   in Loop: Header=BB20_24 Depth=2
	s_or_b64 exec, exec, s[54:55]
	s_add_i32 s65, s65, -1
	v_cmp_eq_u32_e32 vcc, s33, v16
	v_add_u32_e32 v14, s62, v14
	s_or_b64 s[52:53], vcc, s[52:53]
	v_add_u32_e32 v15, 1, v15
	s_andn2_b64 exec, exec, s[52:53]
	s_cbranch_execz .LBB20_46
.LBB20_24:                              ;   Parent Loop BB20_16 Depth=1
                                        ; =>  This Loop Header: Depth=2
                                        ;       Child Loop BB20_29 Depth 3
                                        ;         Child Loop BB20_38 Depth 4
	v_add_u32_e32 v39, 1, v16
	s_and_saveexec_b64 s[0:1], s[4:5]
	s_xor_b64 s[0:1], exec, s[0:1]
; %bb.25:                               ;   in Loop: Header=BB20_24 Depth=2
	v_add_u32_e32 v16, 1, v16
                                        ; implicit-def: $vgpr39
; %bb.26:                               ;   in Loop: Header=BB20_24 Depth=2
	s_andn2_saveexec_b64 s[54:55], s[0:1]
	s_cbranch_execz .LBB20_23
; %bb.27:                               ;   in Loop: Header=BB20_24 Depth=2
	v_add_u32_e32 v18, v16, v38
	v_mad_u64_u32 v[18:19], s[0:1], v18, s33, v[16:17]
	v_ashrrev_i32_e32 v19, 31, v18
	v_lshl_add_u64 v[18:19], v[18:19], 3, s[20:21]
	global_load_dwordx2 v[18:19], v[18:19], off
	v_add_u32_e32 v20, v16, v9
	v_cmp_gt_i32_e64 s[12:13], s33, v39
	s_mov_b64 s[56:57], 0
	v_mov_b32_e32 v40, v15
	v_mul_lo_u32 v41, v20, s33
	s_waitcnt vmcnt(0)
	v_mul_f32_e32 v22, v19, v19
	v_fmac_f32_e32 v22, v18, v18
	v_div_scale_f32 v23, s[0:1], v22, v22, 1.0
	v_rcp_f32_e32 v24, v23
	v_div_scale_f32 v26, vcc, 1.0, v22, 1.0
	v_mov_b32_e32 v20, v18
	v_fma_f32 v27, -v23, v24, 1.0
	v_fmac_f32_e32 v24, v27, v24
	v_mul_f32_e32 v27, v26, v24
	v_fma_f32 v28, -v23, v27, v26
	v_fmac_f32_e32 v27, v28, v24
	v_fma_f32 v23, -v23, v27, v26
	v_div_fmas_f32 v23, v23, v24, v27
	v_div_fixup_f32 v22, v23, v22, 1.0
	v_mov_b32_e32 v21, v18
	v_mov_b32_e32 v18, v19
	;; [unrolled: 1-line block ×4, first 2 shown]
	s_branch .LBB20_29
.LBB20_28:                              ;   in Loop: Header=BB20_29 Depth=3
	s_or_b64 exec, exec, s[58:59]
	v_add_u32_e32 v24, 64, v24
	v_cmp_le_i32_e32 vcc, s33, v24
	s_or_b64 s[56:57], vcc, s[56:57]
	v_add_u32_e32 v40, s63, v40
	s_andn2_b64 exec, exec, s[56:57]
	s_cbranch_execz .LBB20_22
.LBB20_29:                              ;   Parent Loop BB20_16 Depth=1
                                        ;     Parent Loop BB20_24 Depth=2
                                        ; =>    This Loop Header: Depth=3
                                        ;         Child Loop BB20_38 Depth 4
	s_and_b64 vcc, exec, s[40:41]
	v_add_u32_e32 v28, v24, v41
	s_cbranch_vccz .LBB20_44
; %bb.30:                               ;   in Loop: Header=BB20_29 Depth=3
	v_add_u32_e32 v26, v24, v41
	v_add_u32_e32 v29, v24, v9
	s_cbranch_execnz .LBB20_32
.LBB20_31:                              ;   in Loop: Header=BB20_29 Depth=3
	v_mad_u64_u32 v[26:27], s[0:1], v29, s33, v[16:17]
.LBB20_32:                              ;   in Loop: Header=BB20_29 Depth=3
	v_ashrrev_i32_e32 v27, 31, v26
	v_lshl_add_u64 v[26:27], v[26:27], 3, s[20:21]
	global_load_dwordx2 v[26:27], v[26:27], off
	s_and_b64 vcc, exec, s[40:41]
	s_cbranch_vccz .LBB20_45
; %bb.33:                               ;   in Loop: Header=BB20_29 Depth=3
	s_cbranch_execnz .LBB20_35
.LBB20_34:                              ;   in Loop: Header=BB20_29 Depth=3
	v_mad_u64_u32 v[28:29], s[0:1], v29, s33, v[16:17]
.LBB20_35:                              ;   in Loop: Header=BB20_29 Depth=3
	s_waitcnt vmcnt(0)
	v_xor_b32_e32 v31, 0x80000000, v26
	v_mov_b32_e32 v30, v27
	v_pk_mul_f32 v[30:31], v[18:19], v[30:31]
	v_ashrrev_i32_e32 v29, 31, v28
	v_pk_fma_f32 v[26:27], v[26:27], v[20:21], v[30:31]
	v_lshl_add_u64 v[28:29], v[28:29], 3, s[20:21]
	v_pk_mul_f32 v[26:27], v[22:23], v[26:27]
	global_store_dwordx2 v[28:29], v[26:27], off
	s_and_saveexec_b64 s[58:59], s[12:13]
	s_cbranch_execz .LBB20_28
; %bb.36:                               ;   in Loop: Header=BB20_29 Depth=3
	v_pk_add_f32 v[28:29], v[26:27], 0 neg_lo:[1,1] neg_hi:[1,1]
	s_mov_b32 s66, s65
	v_pk_mov_b32 v[28:29], v[26:27], v[28:29] op_sel:[1,0]
	v_mov_b32_e32 v42, v40
	v_mov_b32_e32 v43, v14
	;; [unrolled: 1-line block ×3, first 2 shown]
	s_branch .LBB20_38
.LBB20_37:                              ;   in Loop: Header=BB20_38 Depth=4
	s_waitcnt vmcnt(0)
	v_pk_fma_f32 v[34:35], v[26:27], v[30:31], v[34:35] op_sel_hi:[1,0,1] neg_lo:[1,0,0] neg_hi:[1,0,0]
	v_ashrrev_i32_e32 v33, 31, v32
	s_add_i32 s66, s66, -1
	v_pk_fma_f32 v[30:31], v[28:29], v[30:31], v[34:35] op_sel:[0,1,0]
	v_lshl_add_u64 v[32:33], v[32:33], 3, s[20:21]
	v_add_u32_e32 v44, 1, v44
	v_add_u32_e32 v43, 1, v43
	s_cmp_eq_u32 s66, 0
	v_add_u32_e32 v42, 1, v42
	global_store_dwordx2 v[32:33], v[30:31], off
	s_cbranch_scc1 .LBB20_28
.LBB20_38:                              ;   Parent Loop BB20_16 Depth=1
                                        ;     Parent Loop BB20_24 Depth=2
                                        ;       Parent Loop BB20_29 Depth=3
                                        ; =>      This Inner Loop Header: Depth=4
	v_cndmask_b32_e64 v30, 0, 1, s[40:41]
	v_cmp_ne_u32_e64 s[0:1], 1, v30
	s_andn2_b64 vcc, exec, s[40:41]
	v_mov_b32_e32 v30, v43
	s_cbranch_vccnz .LBB20_40
; %bb.39:                               ;   in Loop: Header=BB20_38 Depth=4
	v_add_u32_e32 v30, v44, v38
	v_mad_u64_u32 v[30:31], s[68:69], v30, s33, v[16:17]
.LBB20_40:                              ;   in Loop: Header=BB20_38 Depth=4
	v_ashrrev_i32_e32 v31, 31, v30
	v_lshl_add_u64 v[30:31], v[30:31], 3, s[20:21]
	global_load_dwordx2 v[30:31], v[30:31], off
	s_and_b64 vcc, exec, s[0:1]
	v_add_u32_e32 v45, v44, v9
	v_mov_b32_e32 v32, v42
	s_cbranch_vccnz .LBB20_42
; %bb.41:                               ;   in Loop: Header=BB20_38 Depth=4
	v_mad_u64_u32 v[32:33], s[68:69], v45, s33, v[24:25]
.LBB20_42:                              ;   in Loop: Header=BB20_38 Depth=4
	v_ashrrev_i32_e32 v33, 31, v32
	v_lshl_add_u64 v[32:33], v[32:33], 3, s[20:21]
	global_load_dwordx2 v[34:35], v[32:33], off
	s_and_b64 vcc, exec, s[0:1]
	v_mov_b32_e32 v32, v42
	s_cbranch_vccnz .LBB20_37
; %bb.43:                               ;   in Loop: Header=BB20_38 Depth=4
	v_mad_u64_u32 v[32:33], s[0:1], v45, s33, v[24:25]
	s_branch .LBB20_37
.LBB20_44:                              ;   in Loop: Header=BB20_29 Depth=3
                                        ; implicit-def: $vgpr26
	v_add_u32_e32 v29, v24, v9
	s_branch .LBB20_31
.LBB20_45:                              ;   in Loop: Header=BB20_29 Depth=3
                                        ; implicit-def: $vgpr28
	s_branch .LBB20_34
.LBB20_46:                              ;   in Loop: Header=BB20_16 Depth=1
	s_or_b64 exec, exec, s[52:53]
.LBB20_47:                              ;   in Loop: Header=BB20_16 Depth=1
	v_subrev_u32_e32 v24, s34, v37
	v_add_u32_e32 v14, 1, v17
	v_cmp_lt_i32_e32 vcc, v14, v24
	s_and_saveexec_b64 s[0:1], vcc
	s_cbranch_execz .LBB20_14
; %bb.48:                               ;   in Loop: Header=BB20_16 Depth=1
	v_mul_lo_u32 v26, s61, v14
	s_mov_b64 s[12:13], 0
	s_branch .LBB20_51
.LBB20_49:                              ;   in Loop: Header=BB20_51 Depth=2
	s_or_b64 exec, exec, s[52:53]
.LBB20_50:                              ;   in Loop: Header=BB20_51 Depth=2
	v_add_u32_e32 v14, 1, v14
	v_cmp_ge_i32_e32 vcc, v14, v24
	s_or_b64 s[12:13], vcc, s[12:13]
	v_add_u32_e32 v26, s61, v26
	s_andn2_b64 exec, exec, s[12:13]
	s_cbranch_execz .LBB20_14
.LBB20_51:                              ;   Parent Loop BB20_16 Depth=1
                                        ; =>  This Loop Header: Depth=2
                                        ;       Child Loop BB20_56 Depth 3
                                        ;       Child Loop BB20_63 Depth 3
                                        ;         Child Loop BB20_65 Depth 4
                                        ;           Child Loop BB20_67 Depth 5
	v_ashrrev_i32_e32 v15, 31, v14
	s_waitcnt lgkmcnt(0)
	v_lshl_add_u64 v[16:17], v[14:15], 2, s[18:19]
	global_load_dword v15, v[16:17], off
	v_mov_b32_e32 v17, s37
	s_and_saveexec_b64 s[52:53], s[6:7]
	s_cbranch_execz .LBB20_53
; %bb.52:                               ;   in Loop: Header=BB20_51 Depth=2
	global_load_dword v16, v[12:13], off
	s_waitcnt vmcnt(0)
	v_subrev_u32_e32 v17, s34, v16
.LBB20_53:                              ;   in Loop: Header=BB20_51 Depth=2
	s_or_b64 exec, exec, s[52:53]
	s_waitcnt vmcnt(0)
	v_subrev_u32_e32 v15, s34, v15
	v_cmp_lt_i32_e32 vcc, v17, v15
	v_mov_b32_e32 v18, v10
	s_and_saveexec_b64 s[52:53], vcc
	s_cbranch_execz .LBB20_59
; %bb.54:                               ;   in Loop: Header=BB20_51 Depth=2
	s_mov_b64 s[54:55], 0
	v_mov_b32_e32 v16, v10
	s_branch .LBB20_56
.LBB20_55:                              ;   in Loop: Header=BB20_56 Depth=3
	s_or_b64 exec, exec, s[56:57]
	v_cmp_ge_i32_e32 vcc, v17, v15
	s_or_b64 s[54:55], vcc, s[54:55]
	v_mov_b32_e32 v16, v18
	s_andn2_b64 exec, exec, s[54:55]
	s_cbranch_execz .LBB20_58
.LBB20_56:                              ;   Parent Loop BB20_16 Depth=1
                                        ;     Parent Loop BB20_51 Depth=2
                                        ; =>    This Inner Loop Header: Depth=3
	v_add_u32_e32 v18, 64, v16
	v_cmp_lt_i32_e32 vcc, v18, v1
	v_mov_b32_e32 v17, s37
	s_and_saveexec_b64 s[56:57], vcc
	s_cbranch_execz .LBB20_55
; %bb.57:                               ;   in Loop: Header=BB20_56 Depth=3
	v_ashrrev_i32_e32 v17, 31, v16
	v_lshl_add_u64 v[16:17], v[16:17], 2, s[18:19]
	global_load_dword v16, v[16:17], off offset:256
	s_waitcnt vmcnt(0)
	v_subrev_u32_e32 v17, s34, v16
	s_branch .LBB20_55
.LBB20_58:                              ;   in Loop: Header=BB20_51 Depth=2
	s_or_b64 exec, exec, s[54:55]
.LBB20_59:                              ;   in Loop: Header=BB20_51 Depth=2
	s_or_b64 exec, exec, s[52:53]
	v_cmp_eq_u32_e32 vcc, v17, v15
	s_cbranch_vccz .LBB20_50
; %bb.60:                               ;   in Loop: Header=BB20_51 Depth=2
	s_ff1_i32_b64 s52, vcc
	v_and_or_b32 v15, v36, 64, s52
	v_lshlrev_b32_e32 v15, 2, v15
	ds_bpermute_b32 v16, v15, v18
	s_and_saveexec_b64 s[52:53], s[2:3]
	s_cbranch_execz .LBB20_49
; %bb.61:                               ;   in Loop: Header=BB20_51 Depth=2
	v_mul_lo_u32 v15, v14, s33
	s_waitcnt lgkmcnt(0)
	v_mul_lo_u32 v17, v16, s33
	s_mov_b64 s[54:55], 0
	v_mov_b32_e32 v27, v5
	v_mov_b32_e32 v16, v0
	s_branch .LBB20_63
.LBB20_62:                              ;   in Loop: Header=BB20_63 Depth=3
	v_add_u32_e32 v16, 64, v16
	v_cmp_le_i32_e32 vcc, s33, v16
	s_or_b64 s[54:55], vcc, s[54:55]
	v_add_u32_e32 v27, s63, v27
	s_andn2_b64 exec, exec, s[54:55]
	s_cbranch_execz .LBB20_49
.LBB20_63:                              ;   Parent Loop BB20_16 Depth=1
                                        ;     Parent Loop BB20_51 Depth=2
                                        ; =>    This Loop Header: Depth=3
                                        ;         Child Loop BB20_65 Depth 4
                                        ;           Child Loop BB20_67 Depth 5
	v_add_u32_e32 v18, v16, v17
	v_mul_lo_u32 v28, v18, s33
	s_mov_b32 s58, 0
	v_mov_b32_e32 v29, v26
	s_branch .LBB20_65
.LBB20_64:                              ;   in Loop: Header=BB20_65 Depth=4
	v_ashrrev_i32_e32 v21, 31, v20
	v_lshl_add_u64 v[20:21], v[20:21], 3, s[20:21]
	global_load_dwordx2 v[22:23], v[20:21], off
	s_add_i32 s58, s58, 1
	s_cmp_eq_u32 s58, s33
	v_add_u32_e32 v29, 1, v29
	s_waitcnt vmcnt(0)
	v_pk_add_f32 v[18:19], v[22:23], v[18:19] neg_lo:[0,1] neg_hi:[0,1]
	global_store_dwordx2 v[20:21], v[18:19], off
	s_cbranch_scc1 .LBB20_62
.LBB20_65:                              ;   Parent Loop BB20_16 Depth=1
                                        ;     Parent Loop BB20_51 Depth=2
                                        ;       Parent Loop BB20_63 Depth=3
                                        ; =>      This Loop Header: Depth=4
                                        ;           Child Loop BB20_67 Depth 5
	v_add_u32_e32 v18, s58, v15
	v_mul_lo_u32 v30, v18, s33
	v_mov_b32_e32 v18, 0
	v_mov_b32_e32 v31, v29
	s_mov_b32 s59, 0
	v_mov_b32_e32 v19, v18
	s_branch .LBB20_67
.LBB20_66:                              ;   in Loop: Header=BB20_67 Depth=5
	v_ashrrev_i32_e32 v23, 31, v22
	v_lshl_add_u64 v[22:23], v[22:23], 3, s[20:21]
	global_load_dwordx2 v[22:23], v[22:23], off
	s_waitcnt vmcnt(1)
	v_xor_b32_e32 v32, 0x80000000, v21
	v_mov_b32_e32 v33, v20
	s_add_i32 s59, s59, 1
	s_cmp_eq_u32 s33, s59
	v_add_u32_e32 v31, s33, v31
	s_waitcnt vmcnt(0)
	v_pk_fma_f32 v[18:19], v[20:21], v[22:23], v[18:19] op_sel_hi:[1,0,1]
	s_nop 0
	v_pk_fma_f32 v[18:19], v[32:33], v[22:23], v[18:19] op_sel:[0,1,0]
	s_cbranch_scc1 .LBB20_73
.LBB20_67:                              ;   Parent Loop BB20_16 Depth=1
                                        ;     Parent Loop BB20_51 Depth=2
                                        ;       Parent Loop BB20_63 Depth=3
                                        ;         Parent Loop BB20_65 Depth=4
                                        ; =>        This Inner Loop Header: Depth=5
	s_and_b64 vcc, exec, s[40:41]
	s_cbranch_vccz .LBB20_72
; %bb.68:                               ;   in Loop: Header=BB20_67 Depth=5
	v_add_u32_e32 v20, s59, v9
	v_mad_u64_u32 v[20:21], s[56:57], v20, s33, v[16:17]
	s_cbranch_execnz .LBB20_70
.LBB20_69:                              ;   in Loop: Header=BB20_67 Depth=5
	v_add_u32_e32 v20, s59, v27
.LBB20_70:                              ;   in Loop: Header=BB20_67 Depth=5
	v_ashrrev_i32_e32 v21, 31, v20
	v_lshl_add_u64 v[20:21], v[20:21], 3, s[20:21]
	global_load_dwordx2 v[20:21], v[20:21], off
	s_andn2_b64 vcc, exec, s[40:41]
	v_mov_b32_e32 v22, v31
	s_cbranch_vccnz .LBB20_66
; %bb.71:                               ;   in Loop: Header=BB20_67 Depth=5
	v_add_u32_e32 v22, s59, v30
	s_branch .LBB20_66
.LBB20_72:                              ;   in Loop: Header=BB20_67 Depth=5
                                        ; implicit-def: $vgpr20
	s_branch .LBB20_69
.LBB20_73:                              ;   in Loop: Header=BB20_65 Depth=4
	s_and_b64 vcc, exec, s[40:41]
	s_cbranch_vccz .LBB20_75
; %bb.74:                               ;   in Loop: Header=BB20_65 Depth=4
	v_add_u32_e32 v20, s58, v17
	v_mad_u64_u32 v[20:21], s[56:57], v20, s33, v[16:17]
	s_cbranch_execnz .LBB20_64
	s_branch .LBB20_76
.LBB20_75:                              ;   in Loop: Header=BB20_65 Depth=4
                                        ; implicit-def: $vgpr20
.LBB20_76:                              ;   in Loop: Header=BB20_65 Depth=4
	v_add_u32_e32 v20, s58, v28
	s_branch .LBB20_64
.LBB20_77:
	s_or_b64 exec, exec, s[42:43]
	s_and_b64 s[6:7], s[44:45], exec
.LBB20_78:
	s_or_b64 exec, exec, s[38:39]
	v_ashrrev_i32_e32 v5, 31, v4
	v_lshl_add_u64 v[8:9], v[4:5], 2, s[18:19]
	global_load_dword v5, v[8:9], off
	s_waitcnt lgkmcnt(0)
	s_cmp_gt_i32 s33, 0
	s_cselect_b64 s[8:9], -1, 0
	s_waitcnt vmcnt(0)
	v_subrev_u32_e32 v5, s34, v5
	v_cmp_eq_u32_e32 vcc, v5, v2
	s_and_b64 s[0:1], s[8:9], vcc
	s_and_saveexec_b64 s[10:11], s[0:1]
	s_cbranch_execz .LBB20_118
; %bb.79:
	s_cmp_eq_u64 s[24:25], 8
	v_cvt_f64_f32_e32 v[8:9], v25
	s_cselect_b64 vcc, -1, 0
	s_mul_i32 s0, s33, s33
	v_cndmask_b32_e32 v7, v9, v7, vcc
	v_cndmask_b32_e32 v6, v8, v6, vcc
	v_mul_lo_u32 v5, v4, s33
	v_mad_u64_u32 v[8:9], s[0:1], v4, s0, 1
	s_cmp_lg_u32 s36, 0
	v_add_u32_e32 v9, v5, v0
	s_cselect_b64 s[12:13], -1, 0
	s_add_i32 s37, s33, 1
	v_mul_lo_u32 v9, s33, v9
	v_cmp_eq_u32_e64 s[2:3], 0, v0
	v_add_u32_e32 v9, s37, v9
	s_lshl_b32 s46, s33, 6
	s_add_i32 s47, s33, -1
	v_mov_b32_e32 v10, 0
	s_mov_b64 s[16:17], 0
	s_mov_b32 s48, 0xf800000
	v_mov_b32_e32 v11, 0x260
	s_brev_b32 s49, -2
	s_mov_b64 s[22:23], s[6:7]
                                        ; implicit-def: $sgpr18_sgpr19
	s_branch .LBB20_81
.LBB20_80:                              ;   in Loop: Header=BB20_81 Depth=1
	s_or_b64 exec, exec, s[0:1]
	s_add_i32 s47, s47, -1
	s_waitcnt vmcnt(0)
	v_cmp_eq_u32_e32 vcc, s33, v15
	s_or_b64 s[16:17], vcc, s[16:17]
	s_andn2_b64 s[0:1], s[18:19], exec
	s_and_b64 s[4:5], s[22:23], exec
	v_add_u32_e32 v8, s37, v8
	v_add_u32_e32 v9, s37, v9
	s_or_b64 s[18:19], s[0:1], s[4:5]
	v_mov_b32_e32 v10, v15
	s_andn2_b64 exec, exec, s[16:17]
	s_cbranch_execz .LBB20_117
.LBB20_81:                              ; =>This Loop Header: Depth=1
                                        ;     Child Loop BB20_97 Depth 2
                                        ;       Child Loop BB20_106 Depth 3
	v_add_u32_e32 v12, v10, v5
	v_mul_lo_u32 v30, v12, s33
	v_add_u32_e32 v12, v30, v10
	v_ashrrev_i32_e32 v13, 31, v12
	v_lshl_add_u64 v[16:17], v[12:13], 3, s[20:21]
	global_load_dwordx2 v[14:15], v[16:17], off
	s_mov_b64 s[4:5], -1
	s_and_b64 vcc, exec, s[14:15]
	s_mov_b64 s[0:1], 0
                                        ; implicit-def: $vgpr12_vgpr13
	s_cbranch_vccz .LBB20_84
; %bb.82:                               ;   in Loop: Header=BB20_81 Depth=1
	s_mov_b64 s[24:25], 0
	s_and_b64 vcc, exec, s[4:5]
	s_cbranch_vccnz .LBB20_93
.LBB20_83:                              ;   in Loop: Header=BB20_81 Depth=1
                                        ; implicit-def: $vgpr15
	s_and_saveexec_b64 s[4:5], s[0:1]
	s_xor_b64 s[38:39], exec, s[4:5]
	s_cbranch_execnz .LBB20_94
	s_branch .LBB20_115
.LBB20_84:                              ;   in Loop: Header=BB20_81 Depth=1
	s_waitcnt vmcnt(0)
	v_cmp_gt_f32_e32 vcc, 0, v14
                                        ; implicit-def: $vgpr18
	s_nop 1
	v_cndmask_b32_e64 v12, v14, -v14, vcc
	v_cmp_gt_f32_e32 vcc, 0, v15
	s_nop 1
	v_cndmask_b32_e64 v13, v15, -v15, vcc
	v_cmp_ngt_f32_e32 vcc, v12, v13
	s_and_saveexec_b64 s[0:1], vcc
	s_xor_b64 s[4:5], exec, s[0:1]
	s_cbranch_execz .LBB20_88
; %bb.85:                               ;   in Loop: Header=BB20_81 Depth=1
	v_mov_b32_e32 v18, 0
	v_cmp_neq_f32_e32 vcc, 0, v15
	s_and_saveexec_b64 s[24:25], vcc
	s_cbranch_execz .LBB20_87
; %bb.86:                               ;   in Loop: Header=BB20_81 Depth=1
	v_div_scale_f32 v18, s[0:1], v13, v13, v12
	v_rcp_f32_e32 v19, v18
	v_div_scale_f32 v20, vcc, v12, v13, v12
	v_fma_f32 v21, -v18, v19, 1.0
	v_fmac_f32_e32 v19, v21, v19
	v_mul_f32_e32 v21, v20, v19
	v_fma_f32 v22, -v18, v21, v20
	v_fmac_f32_e32 v21, v22, v19
	v_fma_f32 v18, -v18, v21, v20
	v_div_fmas_f32 v18, v18, v19, v21
	v_div_fixup_f32 v12, v18, v13, v12
	v_fma_f32 v12, v12, v12, 1.0
	v_mul_f32_e32 v18, 0x4f800000, v12
	v_cmp_gt_f32_e32 vcc, s48, v12
	s_nop 1
	v_cndmask_b32_e32 v12, v12, v18, vcc
	v_sqrt_f32_e32 v18, v12
	s_nop 0
	v_add_u32_e32 v19, -1, v18
	v_fma_f32 v20, -v19, v18, v12
	v_cmp_ge_f32_e64 s[0:1], 0, v20
	v_add_u32_e32 v20, 1, v18
	s_nop 0
	v_cndmask_b32_e64 v19, v18, v19, s[0:1]
	v_fma_f32 v18, -v20, v18, v12
	v_cmp_lt_f32_e64 s[0:1], 0, v18
	s_nop 1
	v_cndmask_b32_e64 v18, v19, v20, s[0:1]
	v_mul_f32_e32 v19, 0x37800000, v18
	v_cndmask_b32_e32 v18, v18, v19, vcc
	v_cmp_class_f32_e32 vcc, v12, v11
	s_nop 1
	v_cndmask_b32_e32 v12, v18, v12, vcc
	v_mul_f32_e32 v18, v13, v12
.LBB20_87:                              ;   in Loop: Header=BB20_81 Depth=1
	s_or_b64 exec, exec, s[24:25]
                                        ; implicit-def: $vgpr12
                                        ; implicit-def: $vgpr13
.LBB20_88:                              ;   in Loop: Header=BB20_81 Depth=1
	s_andn2_saveexec_b64 s[4:5], s[4:5]
	s_cbranch_execz .LBB20_90
; %bb.89:                               ;   in Loop: Header=BB20_81 Depth=1
	v_div_scale_f32 v18, s[0:1], v12, v12, v13
	v_rcp_f32_e32 v19, v18
	v_div_scale_f32 v20, vcc, v13, v12, v13
	v_fma_f32 v21, -v18, v19, 1.0
	v_fmac_f32_e32 v19, v21, v19
	v_mul_f32_e32 v21, v20, v19
	v_fma_f32 v22, -v18, v21, v20
	v_fmac_f32_e32 v21, v22, v19
	v_fma_f32 v18, -v18, v21, v20
	v_div_fmas_f32 v18, v18, v19, v21
	v_div_fixup_f32 v13, v18, v12, v13
	v_fma_f32 v13, v13, v13, 1.0
	v_mul_f32_e32 v18, 0x4f800000, v13
	v_cmp_gt_f32_e32 vcc, s48, v13
	s_nop 1
	v_cndmask_b32_e32 v13, v13, v18, vcc
	v_sqrt_f32_e32 v18, v13
	s_nop 0
	v_add_u32_e32 v19, -1, v18
	v_fma_f32 v20, -v19, v18, v13
	v_cmp_ge_f32_e64 s[0:1], 0, v20
	v_add_u32_e32 v20, 1, v18
	s_nop 0
	v_cndmask_b32_e64 v19, v18, v19, s[0:1]
	v_fma_f32 v18, -v20, v18, v13
	v_cmp_lt_f32_e64 s[0:1], 0, v18
	s_nop 1
	v_cndmask_b32_e64 v18, v19, v20, s[0:1]
	v_mul_f32_e32 v19, 0x37800000, v18
	v_cndmask_b32_e32 v18, v18, v19, vcc
	v_cmp_class_f32_e32 vcc, v13, v11
	s_nop 1
	v_cndmask_b32_e32 v13, v18, v13, vcc
	v_mul_f32_e32 v18, v12, v13
.LBB20_90:                              ;   in Loop: Header=BB20_81 Depth=1
	s_or_b64 exec, exec, s[4:5]
	v_cvt_f64_f32_e32 v[12:13], v18
	v_mov_b32_e32 v18, s60
	v_cmp_ge_f64_e32 vcc, v[6:7], v[12:13]
	v_mov_b32_e32 v13, s35
	s_nop 0
	v_cndmask_b32_e32 v12, v15, v18, vcc
	v_cndmask_b32_e32 v13, v14, v13, vcc
	s_and_saveexec_b64 s[0:1], s[2:3]
	s_cbranch_execz .LBB20_92
; %bb.91:                               ;   in Loop: Header=BB20_81 Depth=1
	v_mov_b32_e32 v18, v13
	v_mov_b32_e32 v19, v12
	global_store_dwordx2 v[16:17], v[18:19], off
.LBB20_92:                              ;   in Loop: Header=BB20_81 Depth=1
	s_or_b64 exec, exec, s[0:1]
	s_mov_b64 s[0:1], -1
	s_mov_b64 s[24:25], 0
	s_branch .LBB20_83
.LBB20_93:                              ;   in Loop: Header=BB20_81 Depth=1
	s_waitcnt vmcnt(0)
	v_mov_b32_e32 v13, v14
	v_bitop3_b32 v14, v14, s49, v15 bitop3:0xc8
	v_cmp_ne_u32_e32 vcc, 0, v14
	s_andn2_b64 s[0:1], s[0:1], exec
	s_and_b64 s[4:5], vcc, exec
	v_mov_b32_e32 v12, v15
	s_mov_b64 s[24:25], -1
	s_or_b64 s[0:1], s[0:1], s[4:5]
                                        ; implicit-def: $vgpr15
	s_and_saveexec_b64 s[4:5], s[0:1]
	s_xor_b64 s[38:39], exec, s[4:5]
	s_cbranch_execz .LBB20_115
.LBB20_94:                              ;   in Loop: Header=BB20_81 Depth=1
	s_waitcnt vmcnt(0)
	v_add_u32_e32 v15, 1, v10
	v_add_u32_e32 v14, v15, v0
	v_cmp_gt_i32_e32 vcc, s33, v14
	s_and_saveexec_b64 s[40:41], vcc
	s_cbranch_execz .LBB20_114
; %bb.95:                               ;   in Loop: Header=BB20_81 Depth=1
	v_mul_f32_e32 v16, v12, v12
	v_fmac_f32_e32 v16, v13, v13
	v_div_scale_f32 v17, s[0:1], v16, v16, 1.0
	v_rcp_f32_e32 v18, v17
	v_div_scale_f32 v19, vcc, 1.0, v16, 1.0
	v_cmp_gt_i32_e64 s[4:5], s33, v15
	v_fma_f32 v20, -v17, v18, 1.0
	v_fmac_f32_e32 v18, v20, v18
	v_mul_f32_e32 v20, v19, v18
	v_fma_f32 v21, -v17, v20, v19
	v_fmac_f32_e32 v20, v21, v18
	v_fma_f32 v17, -v17, v20, v19
	v_div_fmas_f32 v17, v17, v18, v20
	v_div_fixup_f32 v16, v17, v16, 1.0
	v_mov_b32_e32 v17, v16
	v_mov_b32_e32 v18, v12
	;; [unrolled: 1-line block ×4, first 2 shown]
	s_mov_b64 s[42:43], 0
	v_mov_b32_e32 v31, v9
	s_branch .LBB20_97
.LBB20_96:                              ;   in Loop: Header=BB20_97 Depth=2
	s_or_b64 exec, exec, s[44:45]
	v_add_u32_e32 v14, 64, v14
	v_cmp_le_i32_e32 vcc, s33, v14
	s_or_b64 s[42:43], vcc, s[42:43]
	v_add_u32_e32 v31, s46, v31
	s_andn2_b64 exec, exec, s[42:43]
	s_cbranch_execz .LBB20_114
.LBB20_97:                              ;   Parent Loop BB20_81 Depth=1
                                        ; =>  This Loop Header: Depth=2
                                        ;       Child Loop BB20_106 Depth 3
	s_and_b64 vcc, exec, s[12:13]
	v_add_u32_e32 v22, v14, v30
	s_cbranch_vccz .LBB20_112
; %bb.98:                               ;   in Loop: Header=BB20_97 Depth=2
	v_add_u32_e32 v20, v14, v30
	s_cbranch_execnz .LBB20_100
.LBB20_99:                              ;   in Loop: Header=BB20_97 Depth=2
	v_add_u32_e32 v20, v14, v5
	v_mad_u64_u32 v[20:21], s[0:1], v20, s33, v[10:11]
.LBB20_100:                             ;   in Loop: Header=BB20_97 Depth=2
	v_ashrrev_i32_e32 v21, 31, v20
	v_lshl_add_u64 v[20:21], v[20:21], 3, s[20:21]
	global_load_dwordx2 v[20:21], v[20:21], off
	s_and_b64 vcc, exec, s[12:13]
	s_cbranch_vccz .LBB20_113
; %bb.101:                              ;   in Loop: Header=BB20_97 Depth=2
	s_cbranch_execnz .LBB20_103
.LBB20_102:                             ;   in Loop: Header=BB20_97 Depth=2
	v_add_u32_e32 v22, v14, v5
	v_mad_u64_u32 v[22:23], s[0:1], v22, s33, v[10:11]
.LBB20_103:                             ;   in Loop: Header=BB20_97 Depth=2
	s_waitcnt vmcnt(0)
	v_xor_b32_e32 v25, 0x80000000, v20
	v_mov_b32_e32 v24, v21
	v_pk_mul_f32 v[24:25], v[18:19], v[24:25]
	v_ashrrev_i32_e32 v23, 31, v22
	v_pk_fma_f32 v[20:21], v[20:21], v[12:13], v[24:25]
	v_lshl_add_u64 v[22:23], v[22:23], 3, s[20:21]
	v_pk_mul_f32 v[20:21], v[16:17], v[20:21]
	global_store_dwordx2 v[22:23], v[20:21], off
	s_and_saveexec_b64 s[44:45], s[4:5]
	s_cbranch_execz .LBB20_96
; %bb.104:                              ;   in Loop: Header=BB20_97 Depth=2
	v_pk_add_f32 v[22:23], v[20:21], 0 neg_lo:[1,1] neg_hi:[1,1]
	s_mov_b32 s50, s47
	v_pk_mov_b32 v[22:23], v[20:21], v[22:23] op_sel:[1,0]
	v_mov_b32_e32 v32, v31
	v_mov_b32_e32 v33, v8
	v_mov_b32_e32 v34, v15
	s_branch .LBB20_106
.LBB20_105:                             ;   in Loop: Header=BB20_106 Depth=3
	s_waitcnt vmcnt(0)
	v_pk_fma_f32 v[28:29], v[20:21], v[24:25], v[28:29] op_sel_hi:[1,0,1] neg_lo:[1,0,0] neg_hi:[1,0,0]
	v_ashrrev_i32_e32 v27, 31, v26
	s_add_i32 s50, s50, -1
	v_pk_fma_f32 v[24:25], v[22:23], v[24:25], v[28:29] op_sel:[0,1,0]
	v_lshl_add_u64 v[26:27], v[26:27], 3, s[20:21]
	v_add_u32_e32 v34, 1, v34
	v_add_u32_e32 v33, 1, v33
	s_cmp_eq_u32 s50, 0
	v_add_u32_e32 v32, 1, v32
	global_store_dwordx2 v[26:27], v[24:25], off
	s_cbranch_scc1 .LBB20_96
.LBB20_106:                             ;   Parent Loop BB20_81 Depth=1
                                        ;     Parent Loop BB20_97 Depth=2
                                        ; =>    This Inner Loop Header: Depth=3
	v_cndmask_b32_e64 v24, 0, 1, s[12:13]
	v_cmp_ne_u32_e64 s[0:1], 1, v24
	s_andn2_b64 vcc, exec, s[12:13]
	v_add_u32_e32 v35, v34, v5
	v_mov_b32_e32 v24, v33
	s_cbranch_vccnz .LBB20_108
; %bb.107:                              ;   in Loop: Header=BB20_106 Depth=3
	v_mad_u64_u32 v[24:25], s[52:53], v35, s33, v[10:11]
.LBB20_108:                             ;   in Loop: Header=BB20_106 Depth=3
	v_ashrrev_i32_e32 v25, 31, v24
	v_lshl_add_u64 v[24:25], v[24:25], 3, s[20:21]
	global_load_dwordx2 v[24:25], v[24:25], off
	s_and_b64 vcc, exec, s[0:1]
	v_mov_b32_e32 v26, v32
	s_cbranch_vccnz .LBB20_110
; %bb.109:                              ;   in Loop: Header=BB20_106 Depth=3
	v_mad_u64_u32 v[26:27], s[52:53], v35, s33, v[14:15]
.LBB20_110:                             ;   in Loop: Header=BB20_106 Depth=3
	v_ashrrev_i32_e32 v27, 31, v26
	v_lshl_add_u64 v[26:27], v[26:27], 3, s[20:21]
	global_load_dwordx2 v[28:29], v[26:27], off
	s_and_b64 vcc, exec, s[0:1]
	v_mov_b32_e32 v26, v32
	s_cbranch_vccnz .LBB20_105
; %bb.111:                              ;   in Loop: Header=BB20_106 Depth=3
	v_mad_u64_u32 v[26:27], s[0:1], v35, s33, v[14:15]
	s_branch .LBB20_105
.LBB20_112:                             ;   in Loop: Header=BB20_97 Depth=2
                                        ; implicit-def: $vgpr20
	s_branch .LBB20_99
.LBB20_113:                             ;   in Loop: Header=BB20_97 Depth=2
                                        ; implicit-def: $vgpr22
	s_branch .LBB20_102
.LBB20_114:                             ;   in Loop: Header=BB20_81 Depth=1
	s_or_b64 exec, exec, s[40:41]
	s_andn2_b64 s[24:25], s[24:25], exec
.LBB20_115:                             ;   in Loop: Header=BB20_81 Depth=1
	s_or_b64 exec, exec, s[38:39]
	s_andn2_b64 s[0:1], s[22:23], exec
	s_and_b64 s[4:5], s[22:23], exec
	s_or_b64 s[22:23], s[0:1], s[4:5]
	s_and_saveexec_b64 s[0:1], s[24:25]
	s_cbranch_execz .LBB20_80
; %bb.116:                              ;   in Loop: Header=BB20_81 Depth=1
	s_waitcnt vmcnt(0)
	v_add_u32_e32 v15, 1, v10
	s_or_b64 s[22:23], s[22:23], exec
	s_branch .LBB20_80
.LBB20_117:
	s_or_b64 exec, exec, s[16:17]
	s_andn2_b64 s[0:1], s[6:7], exec
	s_and_b64 s[2:3], s[18:19], exec
	s_or_b64 s[6:7], s[0:1], s[2:3]
.LBB20_118:
	s_or_b64 exec, exec, s[10:11]
	v_add_u32_e32 v12, 1, v4
	v_cmp_lt_i32_e32 vcc, v12, v1
	s_and_saveexec_b64 s[10:11], vcc
	s_cbranch_execz .LBB20_142
; %bb.119:
	v_mul_lo_u32 v13, v4, s33
	v_mul_lo_u32 v4, s33, v13
	s_mul_i32 s23, s33, s33
	v_add_u32_e32 v14, s33, v4
	v_mul_lo_u32 v4, s23, v12
	s_cmp_lg_u32 s36, 0
	v_add3_u32 v15, v4, s33, v0
	v_cndmask_b32_e64 v4, 0, 1, s[8:9]
	v_cmp_gt_i32_e64 s[0:1], s33, v0
	s_cselect_b64 s[12:13], -1, 0
	s_add_i32 s22, s33, 1
	s_add_i32 s24, s33, -1
	s_mov_b64 s[14:15], 0
	v_cmp_ne_u32_e64 s[2:3], 1, v4
	s_branch .LBB20_121
.LBB20_120:                             ;   in Loop: Header=BB20_121 Depth=1
	v_add_u32_e32 v12, 1, v12
	v_cmp_ge_i32_e32 vcc, v12, v1
	s_or_b64 s[14:15], vcc, s[14:15]
	v_add_u32_e32 v15, s23, v15
	s_andn2_b64 exec, exec, s[14:15]
	s_cbranch_execz .LBB20_142
.LBB20_121:                             ; =>This Loop Header: Depth=1
                                        ;     Child Loop BB20_124 Depth 2
                                        ;       Child Loop BB20_127 Depth 3
                                        ;         Child Loop BB20_130 Depth 4
	s_and_b64 vcc, exec, s[2:3]
	s_cbranch_vccnz .LBB20_120
; %bb.122:                              ;   in Loop: Header=BB20_121 Depth=1
	v_mul_lo_u32 v16, v12, s33
	s_mov_b32 s35, 0
	s_mov_b32 s25, s24
	v_mov_b32_e32 v17, v15
	v_mov_b32_e32 v18, v14
	s_branch .LBB20_124
.LBB20_123:                             ;   in Loop: Header=BB20_124 Depth=2
	s_or_b64 exec, exec, s[8:9]
	s_add_i32 s25, s25, -1
	v_add_u32_e32 v18, s22, v18
	v_add_u32_e32 v17, s33, v17
	s_cmp_eq_u32 s36, s33
	s_mov_b32 s35, s36
	s_cbranch_scc1 .LBB20_120
.LBB20_124:                             ;   Parent Loop BB20_121 Depth=1
                                        ; =>  This Loop Header: Depth=2
                                        ;       Child Loop BB20_127 Depth 3
                                        ;         Child Loop BB20_130 Depth 4
	s_add_i32 s36, s35, 1
	s_and_saveexec_b64 s[8:9], s[0:1]
	s_cbranch_execz .LBB20_123
; %bb.125:                              ;   in Loop: Header=BB20_124 Depth=2
	s_cmp_lt_i32 s36, s33
	v_add_u32_e32 v4, s35, v13
	v_mul_lo_u32 v19, v4, s33
	v_add_u32_e32 v4, s35, v16
	s_cselect_b64 s[4:5], -1, 0
	v_mul_lo_u32 v20, v4, s33
	v_cndmask_b32_e64 v4, 0, 1, s[4:5]
	s_mov_b64 s[16:17], 0
	v_cmp_ne_u32_e64 s[4:5], 1, v4
	v_mov_b32_e32 v21, v17
	v_mov_b32_e32 v22, v0
	s_branch .LBB20_127
.LBB20_126:                             ;   in Loop: Header=BB20_127 Depth=3
	v_add_u32_e32 v22, 64, v22
	v_cmp_le_i32_e32 vcc, s33, v22
	s_or_b64 s[16:17], vcc, s[16:17]
	v_add_u32_e32 v21, 64, v21
	s_andn2_b64 exec, exec, s[16:17]
	s_cbranch_execz .LBB20_123
.LBB20_127:                             ;   Parent Loop BB20_121 Depth=1
                                        ;     Parent Loop BB20_124 Depth=2
                                        ; =>    This Loop Header: Depth=3
                                        ;         Child Loop BB20_130 Depth 4
	s_and_b64 vcc, exec, s[4:5]
	s_cbranch_vccnz .LBB20_126
; %bb.128:                              ;   in Loop: Header=BB20_127 Depth=3
	v_add_u32_e32 v4, v22, v16
	v_mul_lo_u32 v23, v4, s33
	v_add_u32_e32 v24, s35, v23
	v_add_u32_e32 v25, v22, v20
	s_mov_b32 s37, 0
	s_mov_b32 s38, s25
	;; [unrolled: 1-line block ×3, first 2 shown]
	s_branch .LBB20_130
.LBB20_129:                             ;   in Loop: Header=BB20_130 Depth=4
	s_waitcnt vmcnt(2)
	v_pk_add_f32 v[26:27], v[4:5], 0 neg_lo:[1,1] neg_hi:[1,1]
	s_waitcnt vmcnt(0)
	v_pk_fma_f32 v[10:11], v[4:5], v[6:7], v[10:11] op_sel_hi:[1,0,1] neg_lo:[1,0,0] neg_hi:[1,0,0]
	v_pk_mov_b32 v[4:5], v[4:5], v[26:27] op_sel:[1,0]
	v_ashrrev_i32_e32 v9, 31, v8
	s_add_i32 s39, s39, 1
	s_add_i32 s37, s37, s33
	s_add_i32 s38, s38, -1
	v_pk_fma_f32 v[4:5], v[4:5], v[6:7], v[10:11] op_sel:[0,1,0]
	v_lshl_add_u64 v[6:7], v[8:9], 3, s[20:21]
	s_cmp_eq_u32 s38, 0
	global_store_dwordx2 v[6:7], v[4:5], off
	s_cbranch_scc1 .LBB20_126
.LBB20_130:                             ;   Parent Loop BB20_121 Depth=1
                                        ;     Parent Loop BB20_124 Depth=2
                                        ;       Parent Loop BB20_127 Depth=3
                                        ; =>      This Inner Loop Header: Depth=4
	s_and_b64 vcc, exec, s[12:13]
	s_cbranch_vccz .LBB20_138
; %bb.131:                              ;   in Loop: Header=BB20_130 Depth=4
	v_add_u32_e32 v4, s39, v19
	v_mov_b32_e32 v6, v24
	s_cbranch_execnz .LBB20_133
.LBB20_132:                             ;   in Loop: Header=BB20_130 Depth=4
	v_add_u32_e32 v4, s37, v18
	v_mov_b32_e32 v6, v25
.LBB20_133:                             ;   in Loop: Header=BB20_130 Depth=4
	v_ashrrev_i32_e32 v5, 31, v4
	v_lshl_add_u64 v[8:9], v[4:5], 3, s[20:21]
	v_ashrrev_i32_e32 v7, 31, v6
	v_lshl_add_u64 v[10:11], v[6:7], 3, s[20:21]
	global_load_dwordx2 v[4:5], v[8:9], off
	global_load_dwordx2 v[6:7], v[10:11], off
	s_and_b64 vcc, exec, s[12:13]
	v_add_u32_e32 v8, s39, v23
	s_cbranch_vccz .LBB20_139
; %bb.134:                              ;   in Loop: Header=BB20_130 Depth=4
	v_add_u32_e32 v10, s39, v23
	v_add_u32_e32 v9, s37, v21
	s_cbranch_execnz .LBB20_136
.LBB20_135:                             ;   in Loop: Header=BB20_130 Depth=4
	v_add_u32_e32 v10, s37, v21
.LBB20_136:                             ;   in Loop: Header=BB20_130 Depth=4
	v_ashrrev_i32_e32 v11, 31, v10
	v_lshl_add_u64 v[10:11], v[10:11], 3, s[20:21]
	global_load_dwordx2 v[10:11], v[10:11], off
	s_and_b64 vcc, exec, s[12:13]
	s_cbranch_vccz .LBB20_140
; %bb.137:                              ;   in Loop: Header=BB20_130 Depth=4
	s_cbranch_execnz .LBB20_129
	s_branch .LBB20_141
.LBB20_138:                             ;   in Loop: Header=BB20_130 Depth=4
                                        ; implicit-def: $vgpr4
	v_mov_b32_e32 v6, v24
	s_branch .LBB20_132
.LBB20_139:                             ;   in Loop: Header=BB20_130 Depth=4
                                        ; implicit-def: $vgpr10
	v_add_u32_e32 v9, s37, v21
	s_branch .LBB20_135
.LBB20_140:                             ;   in Loop: Header=BB20_130 Depth=4
                                        ; implicit-def: $vgpr8
.LBB20_141:                             ;   in Loop: Header=BB20_130 Depth=4
	v_mov_b32_e32 v8, v9
	s_branch .LBB20_129
.LBB20_142:
	s_or_b64 exec, exec, s[10:11]
	s_orn2_b64 s[2:3], s[6:7], exec
.LBB20_143:
	s_or_b64 exec, exec, s[30:31]
	v_cmp_eq_u32_e32 vcc, 0, v0
	s_and_b64 exec, exec, vcc
	s_cbranch_execz .LBB20_149
; %bb.144:
	v_lshl_add_u64 v[0:1], v[2:3], 2, s[28:29]
	v_mov_b32_e32 v3, 1
	buffer_wbl2 sc1
	s_waitcnt vmcnt(0)
	global_store_dword v[0:1], v3, off sc1
	s_and_b64 exec, exec, s[2:3]
	s_cbranch_execz .LBB20_149
; %bb.145:
	s_mov_b64 s[0:1], exec
	v_add_u32_e32 v0, s34, v2
	s_brev_b32 s2, -2
.LBB20_146:                             ; =>This Inner Loop Header: Depth=1
	s_ff1_i32_b64 s3, s[0:1]
	v_readlane_b32 s6, v0, s3
	s_lshl_b64 s[4:5], 1, s3
	s_min_i32 s2, s2, s6
	s_andn2_b64 s[0:1], s[0:1], s[4:5]
	s_cmp_lg_u64 s[0:1], 0
	s_cbranch_scc1 .LBB20_146
; %bb.147:
	v_mbcnt_lo_u32_b32 v0, exec_lo, 0
	v_mbcnt_hi_u32_b32 v0, exec_hi, v0
	v_cmp_eq_u32_e32 vcc, 0, v0
	s_and_saveexec_b64 s[0:1], vcc
	s_xor_b64 s[0:1], exec, s[0:1]
	s_cbranch_execz .LBB20_149
; %bb.148:
	v_mov_b32_e32 v0, 0
	v_mov_b32_e32 v1, s2
	global_atomic_smin v0, v1, s[26:27]
.LBB20_149:
	s_endpgm
	.section	.rodata,"a",@progbits
	.p2align	6, 0x0
	.amdhsa_kernel _ZN9rocsparseL15bsrilu0_generalILj128ELj64ELb0E21rocsparse_complex_numIfEEEv20rocsparse_direction_iPKiS5_PT2_S5_iPiS5_S8_21rocsparse_index_base_imNS_24const_host_device_scalarIfEENSA_IdEENSA_IS6_EEb
		.amdhsa_group_segment_fixed_size 0
		.amdhsa_private_segment_fixed_size 0
		.amdhsa_kernarg_size 116
		.amdhsa_user_sgpr_count 2
		.amdhsa_user_sgpr_dispatch_ptr 0
		.amdhsa_user_sgpr_queue_ptr 0
		.amdhsa_user_sgpr_kernarg_segment_ptr 1
		.amdhsa_user_sgpr_dispatch_id 0
		.amdhsa_user_sgpr_kernarg_preload_length 0
		.amdhsa_user_sgpr_kernarg_preload_offset 0
		.amdhsa_user_sgpr_private_segment_size 0
		.amdhsa_uses_dynamic_stack 0
		.amdhsa_enable_private_segment 0
		.amdhsa_system_sgpr_workgroup_id_x 1
		.amdhsa_system_sgpr_workgroup_id_y 0
		.amdhsa_system_sgpr_workgroup_id_z 0
		.amdhsa_system_sgpr_workgroup_info 0
		.amdhsa_system_vgpr_workitem_id 0
		.amdhsa_next_free_vgpr 46
		.amdhsa_next_free_sgpr 70
		.amdhsa_accum_offset 48
		.amdhsa_reserve_vcc 1
		.amdhsa_float_round_mode_32 0
		.amdhsa_float_round_mode_16_64 0
		.amdhsa_float_denorm_mode_32 3
		.amdhsa_float_denorm_mode_16_64 3
		.amdhsa_dx10_clamp 1
		.amdhsa_ieee_mode 1
		.amdhsa_fp16_overflow 0
		.amdhsa_tg_split 0
		.amdhsa_exception_fp_ieee_invalid_op 0
		.amdhsa_exception_fp_denorm_src 0
		.amdhsa_exception_fp_ieee_div_zero 0
		.amdhsa_exception_fp_ieee_overflow 0
		.amdhsa_exception_fp_ieee_underflow 0
		.amdhsa_exception_fp_ieee_inexact 0
		.amdhsa_exception_int_div_zero 0
	.end_amdhsa_kernel
	.section	.text._ZN9rocsparseL15bsrilu0_generalILj128ELj64ELb0E21rocsparse_complex_numIfEEEv20rocsparse_direction_iPKiS5_PT2_S5_iPiS5_S8_21rocsparse_index_base_imNS_24const_host_device_scalarIfEENSA_IdEENSA_IS6_EEb,"axG",@progbits,_ZN9rocsparseL15bsrilu0_generalILj128ELj64ELb0E21rocsparse_complex_numIfEEEv20rocsparse_direction_iPKiS5_PT2_S5_iPiS5_S8_21rocsparse_index_base_imNS_24const_host_device_scalarIfEENSA_IdEENSA_IS6_EEb,comdat
.Lfunc_end20:
	.size	_ZN9rocsparseL15bsrilu0_generalILj128ELj64ELb0E21rocsparse_complex_numIfEEEv20rocsparse_direction_iPKiS5_PT2_S5_iPiS5_S8_21rocsparse_index_base_imNS_24const_host_device_scalarIfEENSA_IdEENSA_IS6_EEb, .Lfunc_end20-_ZN9rocsparseL15bsrilu0_generalILj128ELj64ELb0E21rocsparse_complex_numIfEEEv20rocsparse_direction_iPKiS5_PT2_S5_iPiS5_S8_21rocsparse_index_base_imNS_24const_host_device_scalarIfEENSA_IdEENSA_IS6_EEb
                                        ; -- End function
	.set _ZN9rocsparseL15bsrilu0_generalILj128ELj64ELb0E21rocsparse_complex_numIfEEEv20rocsparse_direction_iPKiS5_PT2_S5_iPiS5_S8_21rocsparse_index_base_imNS_24const_host_device_scalarIfEENSA_IdEENSA_IS6_EEb.num_vgpr, 46
	.set _ZN9rocsparseL15bsrilu0_generalILj128ELj64ELb0E21rocsparse_complex_numIfEEEv20rocsparse_direction_iPKiS5_PT2_S5_iPiS5_S8_21rocsparse_index_base_imNS_24const_host_device_scalarIfEENSA_IdEENSA_IS6_EEb.num_agpr, 0
	.set _ZN9rocsparseL15bsrilu0_generalILj128ELj64ELb0E21rocsparse_complex_numIfEEEv20rocsparse_direction_iPKiS5_PT2_S5_iPiS5_S8_21rocsparse_index_base_imNS_24const_host_device_scalarIfEENSA_IdEENSA_IS6_EEb.numbered_sgpr, 70
	.set _ZN9rocsparseL15bsrilu0_generalILj128ELj64ELb0E21rocsparse_complex_numIfEEEv20rocsparse_direction_iPKiS5_PT2_S5_iPiS5_S8_21rocsparse_index_base_imNS_24const_host_device_scalarIfEENSA_IdEENSA_IS6_EEb.num_named_barrier, 0
	.set _ZN9rocsparseL15bsrilu0_generalILj128ELj64ELb0E21rocsparse_complex_numIfEEEv20rocsparse_direction_iPKiS5_PT2_S5_iPiS5_S8_21rocsparse_index_base_imNS_24const_host_device_scalarIfEENSA_IdEENSA_IS6_EEb.private_seg_size, 0
	.set _ZN9rocsparseL15bsrilu0_generalILj128ELj64ELb0E21rocsparse_complex_numIfEEEv20rocsparse_direction_iPKiS5_PT2_S5_iPiS5_S8_21rocsparse_index_base_imNS_24const_host_device_scalarIfEENSA_IdEENSA_IS6_EEb.uses_vcc, 1
	.set _ZN9rocsparseL15bsrilu0_generalILj128ELj64ELb0E21rocsparse_complex_numIfEEEv20rocsparse_direction_iPKiS5_PT2_S5_iPiS5_S8_21rocsparse_index_base_imNS_24const_host_device_scalarIfEENSA_IdEENSA_IS6_EEb.uses_flat_scratch, 0
	.set _ZN9rocsparseL15bsrilu0_generalILj128ELj64ELb0E21rocsparse_complex_numIfEEEv20rocsparse_direction_iPKiS5_PT2_S5_iPiS5_S8_21rocsparse_index_base_imNS_24const_host_device_scalarIfEENSA_IdEENSA_IS6_EEb.has_dyn_sized_stack, 0
	.set _ZN9rocsparseL15bsrilu0_generalILj128ELj64ELb0E21rocsparse_complex_numIfEEEv20rocsparse_direction_iPKiS5_PT2_S5_iPiS5_S8_21rocsparse_index_base_imNS_24const_host_device_scalarIfEENSA_IdEENSA_IS6_EEb.has_recursion, 0
	.set _ZN9rocsparseL15bsrilu0_generalILj128ELj64ELb0E21rocsparse_complex_numIfEEEv20rocsparse_direction_iPKiS5_PT2_S5_iPiS5_S8_21rocsparse_index_base_imNS_24const_host_device_scalarIfEENSA_IdEENSA_IS6_EEb.has_indirect_call, 0
	.section	.AMDGPU.csdata,"",@progbits
; Kernel info:
; codeLenInByte = 4428
; TotalNumSgprs: 76
; NumVgprs: 46
; NumAgprs: 0
; TotalNumVgprs: 46
; ScratchSize: 0
; MemoryBound: 0
; FloatMode: 240
; IeeeMode: 1
; LDSByteSize: 0 bytes/workgroup (compile time only)
; SGPRBlocks: 9
; VGPRBlocks: 5
; NumSGPRsForWavesPerEU: 76
; NumVGPRsForWavesPerEU: 46
; AccumOffset: 48
; Occupancy: 8
; WaveLimiterHint : 1
; COMPUTE_PGM_RSRC2:SCRATCH_EN: 0
; COMPUTE_PGM_RSRC2:USER_SGPR: 2
; COMPUTE_PGM_RSRC2:TRAP_HANDLER: 0
; COMPUTE_PGM_RSRC2:TGID_X_EN: 1
; COMPUTE_PGM_RSRC2:TGID_Y_EN: 0
; COMPUTE_PGM_RSRC2:TGID_Z_EN: 0
; COMPUTE_PGM_RSRC2:TIDIG_COMP_CNT: 0
; COMPUTE_PGM_RSRC3_GFX90A:ACCUM_OFFSET: 11
; COMPUTE_PGM_RSRC3_GFX90A:TG_SPLIT: 0
	.section	.text._ZN9rocsparseL15bsrilu0_generalILj128ELj64ELb1E21rocsparse_complex_numIdEEEv20rocsparse_direction_iPKiS5_PT2_S5_iPiS5_S8_21rocsparse_index_base_imNS_24const_host_device_scalarIfEENSA_IdEENSA_IS6_EEb,"axG",@progbits,_ZN9rocsparseL15bsrilu0_generalILj128ELj64ELb1E21rocsparse_complex_numIdEEEv20rocsparse_direction_iPKiS5_PT2_S5_iPiS5_S8_21rocsparse_index_base_imNS_24const_host_device_scalarIfEENSA_IdEENSA_IS6_EEb,comdat
	.globl	_ZN9rocsparseL15bsrilu0_generalILj128ELj64ELb1E21rocsparse_complex_numIdEEEv20rocsparse_direction_iPKiS5_PT2_S5_iPiS5_S8_21rocsparse_index_base_imNS_24const_host_device_scalarIfEENSA_IdEENSA_IS6_EEb ; -- Begin function _ZN9rocsparseL15bsrilu0_generalILj128ELj64ELb1E21rocsparse_complex_numIdEEEv20rocsparse_direction_iPKiS5_PT2_S5_iPiS5_S8_21rocsparse_index_base_imNS_24const_host_device_scalarIfEENSA_IdEENSA_IS6_EEb
	.p2align	8
	.type	_ZN9rocsparseL15bsrilu0_generalILj128ELj64ELb1E21rocsparse_complex_numIdEEEv20rocsparse_direction_iPKiS5_PT2_S5_iPiS5_S8_21rocsparse_index_base_imNS_24const_host_device_scalarIfEENSA_IdEENSA_IS6_EEb,@function
_ZN9rocsparseL15bsrilu0_generalILj128ELj64ELb1E21rocsparse_complex_numIdEEEv20rocsparse_direction_iPKiS5_PT2_S5_iPiS5_S8_21rocsparse_index_base_imNS_24const_host_device_scalarIfEENSA_IdEENSA_IS6_EEb: ; @_ZN9rocsparseL15bsrilu0_generalILj128ELj64ELb1E21rocsparse_complex_numIdEEEv20rocsparse_direction_iPKiS5_PT2_S5_iPiS5_S8_21rocsparse_index_base_imNS_24const_host_device_scalarIfEENSA_IdEENSA_IS6_EEb
; %bb.0:
	s_load_dword s3, s[0:1], 0x78
	s_load_dwordx8 s[24:31], s[0:1], 0x50
	s_load_dwordx2 s[4:5], s[0:1], 0x70
	s_load_dwordx2 s[34:35], s[0:1], 0x48
	s_waitcnt lgkmcnt(0)
	s_bitcmp1_b32 s3, 0
	s_cselect_b64 s[6:7], -1, 0
	v_mov_b64_e32 v[2:3], s[30:31]
	s_cmp_eq_u32 s35, 0
	s_cselect_b64 s[14:15], -1, 0
	s_cmp_lg_u32 s35, 0
	s_cselect_b64 s[8:9], -1, 0
	s_or_b64 s[16:17], s[14:15], s[6:7]
	s_xor_b64 s[10:11], s[16:17], -1
	s_and_b64 s[12:13], s[14:15], exec
	s_cselect_b32 s13, 0, s29
	s_cselect_b32 s12, 0, s28
	s_and_b64 vcc, exec, s[16:17]
	scratch_store_dwordx2 off, v[2:3], off offset:32
	s_cbranch_vccnz .LBB21_2
; %bb.1:
	s_load_dword s3, s[26:27], 0x0
	s_mov_b64 s[12:13], s[28:29]
	s_waitcnt lgkmcnt(0)
	v_mov_b32_e32 v33, s3
	s_andn2_b64 vcc, exec, s[10:11]
	v_mov_b64_e32 v[22:23], s[12:13]
	s_cbranch_vccz .LBB21_3
	s_branch .LBB21_4
.LBB21_2:
	v_mov_b32_e32 v1, s26
	v_cndmask_b32_e64 v33, v1, 0, s[14:15]
	s_andn2_b64 vcc, exec, s[10:11]
	v_mov_b64_e32 v[22:23], s[12:13]
	s_cbranch_vccnz .LBB21_4
.LBB21_3:
	v_mov_b64_e32 v[2:3], s[28:29]
	flat_load_dwordx2 v[22:23], v[2:3]
.LBB21_4:
	v_cndmask_b32_e64 v1, 0, 1, s[8:9]
	v_mov_b64_e32 v[2:3], 0
	v_cmp_ne_u32_e64 s[14:15], 1, v1
	s_andn2_b64 vcc, exec, s[8:9]
	v_mov_b64_e32 v[4:5], 0
	s_cbranch_vccnz .LBB21_7
; %bb.5:
	s_xor_b64 s[10:11], s[6:7], -1
	s_mov_b64 s[8:9], src_private_base
	s_and_b64 s[6:7], s[6:7], exec
	s_cselect_b32 s3, s9, s31
	s_cselect_b32 s6, 32, s30
	v_mov_b32_e32 v2, s6
	v_mov_b32_e32 v3, s3
	flat_load_dwordx2 v[2:3], v[2:3]
	s_andn2_b64 vcc, exec, s[10:11]
	v_mov_b64_e32 v[4:5], s[4:5]
	s_cbranch_vccnz .LBB21_7
; %bb.6:
	v_mov_b64_e32 v[4:5], s[30:31]
	flat_load_dwordx2 v[4:5], v[4:5] offset:8
.LBB21_7:
	s_load_dwordx2 s[36:37], s[0:1], 0x0
	s_lshl_b32 s2, s2, 1
	v_lshrrev_b32_e32 v1, 6, v0
	s_and_b32 s2, s2, 0x3fffffe
	v_or_b32_e32 v1, s2, v1
	s_waitcnt lgkmcnt(0)
	v_cmp_gt_i32_e32 vcc, s37, v1
	s_waitcnt vmcnt(0)
	scratch_store_dwordx4 off, v[2:5], off
	s_and_saveexec_b64 s[2:3], vcc
	s_cbranch_execz .LBB21_148
; %bb.8:
	s_load_dwordx4 s[28:31], s[0:1], 0x30
	s_load_dwordx2 s[26:27], s[0:1], 0x40
	v_lshlrev_b32_e32 v1, 2, v1
	s_load_dwordx8 s[16:23], s[0:1], 0x8
	v_and_b32_e32 v18, 63, v0
	s_waitcnt lgkmcnt(0)
	global_load_dword v16, v1, s[30:31]
	s_mov_b64 s[2:3], -1
	s_waitcnt vmcnt(0)
	v_ashrrev_i32_e32 v17, 31, v16
	v_lshl_add_u64 v[2:3], v[16:17], 2, s[22:23]
	global_load_dword v20, v[2:3], off
	s_waitcnt vmcnt(0)
	v_cmp_ne_u32_e32 vcc, -1, v20
	s_and_saveexec_b64 s[30:31], vcc
	s_cbranch_execz .LBB21_142
; %bb.9:
	v_lshl_add_u64 v[0:1], v[16:17], 2, s[16:17]
	global_load_dwordx2 v[0:1], v[0:1], off
	s_load_dword s33, s[0:1], 0x28
	s_mov_b64 s[6:7], 0
	s_waitcnt vmcnt(0)
	v_subrev_u32_e32 v24, s34, v0
	v_subrev_u32_e32 v19, s34, v1
	v_cmp_lt_i32_e32 vcc, v24, v20
	s_and_saveexec_b64 s[38:39], vcc
	s_cbranch_execz .LBB21_77
; %bb.10:
	s_waitcnt lgkmcnt(0)
	s_cmp_gt_i32 s33, 0
	s_cselect_b64 s[0:1], -1, 0
	v_mad_u64_u32 v[0:1], s[8:9], s33, v24, v[18:19]
	v_add_u32_e32 v26, v24, v18
	v_mul_lo_u32 v21, s33, v0
	v_cndmask_b32_e64 v0, 0, 1, s[0:1]
	s_cmp_lg_u32 s36, 0
	v_ashrrev_i32_e32 v27, 31, v26
	v_cmp_ne_u32_e64 s[8:9], 1, v0
	v_mbcnt_lo_u32_b32 v0, -1, 0
	s_cselect_b64 s[40:41], -1, 0
	v_cmp_gt_i32_e64 s[2:3], s33, v18
	v_cmp_le_i32_e64 s[4:5], s33, v18
	v_cmp_lt_i32_e64 s[6:7], v26, v19
	s_add_i32 s35, s37, 1
	v_lshl_add_u64 v[28:29], v[26:27], 2, s[18:19]
	s_mul_i32 s37, s33, s33
	s_add_i32 s60, s33, 1
	v_add_u32_e32 v27, 1, v21
	s_lshl_b32 s61, s33, 6
	s_add_i32 s62, s33, -1
	s_mov_b64 s[48:49], 0
	s_mov_b64 s[42:43], 0
	v_mbcnt_hi_u32_b32 v37, -1, v0
                                        ; implicit-def: $sgpr44_sgpr45
                                        ; implicit-def: $sgpr46_sgpr47
	s_branch .LBB21_13
.LBB21_11:                              ;   in Loop: Header=BB21_13 Depth=1
	s_or_b64 exec, exec, s[0:1]
	s_andn2_b64 s[0:1], s[46:47], exec
	s_and_b64 s[12:13], s[48:49], exec
	s_or_b64 s[46:47], s[0:1], s[12:13]
.LBB21_12:                              ;   in Loop: Header=BB21_13 Depth=1
	s_or_b64 exec, exec, s[50:51]
	v_add_u32_e32 v24, 1, v24
	v_cmp_ge_i32_e32 vcc, v24, v20
	s_xor_b64 s[0:1], s[10:11], -1
	s_or_b64 s[0:1], s[0:1], vcc
	s_and_b64 s[0:1], exec, s[0:1]
	s_or_b64 s[42:43], s[0:1], s[42:43]
	s_andn2_b64 s[0:1], s[44:45], exec
	s_and_b64 s[10:11], s[46:47], exec
	v_add_u32_e32 v27, s37, v27
	v_add_u32_e32 v21, s37, v21
	s_or_b64 s[44:45], s[0:1], s[10:11]
	s_mov_b64 s[48:49], s[46:47]
	s_andn2_b64 exec, exec, s[42:43]
	s_cbranch_execz .LBB21_76
.LBB21_13:                              ; =>This Loop Header: Depth=1
                                        ;     Child Loop BB21_17 Depth 2
                                        ;       Child Loop BB21_18 Depth 3
                                        ;     Child Loop BB21_23 Depth 2
                                        ;       Child Loop BB21_28 Depth 3
                                        ;         Child Loop BB21_37 Depth 4
                                        ;     Child Loop BB21_50 Depth 2
                                        ;       Child Loop BB21_55 Depth 3
                                        ;       Child Loop BB21_62 Depth 3
                                        ;         Child Loop BB21_64 Depth 4
                                        ;           Child Loop BB21_66 Depth 5
	v_ashrrev_i32_e32 v25, 31, v24
	s_waitcnt lgkmcnt(0)
	v_lshl_add_u64 v[0:1], v[24:25], 2, s[18:19]
	global_load_dword v0, v[0:1], off
	s_or_b64 s[46:47], s[46:47], exec
	s_waitcnt vmcnt(0)
	v_subrev_u32_e32 v0, s34, v0
	v_ashrrev_i32_e32 v1, 31, v0
	v_lshl_add_u64 v[2:3], v[0:1], 2, s[22:23]
	global_load_dword v40, v[2:3], off
	s_waitcnt vmcnt(0)
	v_cmp_ne_u32_e64 s[10:11], -1, v40
	s_and_saveexec_b64 s[50:51], s[10:11]
	s_cbranch_execz .LBB21_12
; %bb.14:                               ;   in Loop: Header=BB21_13 Depth=1
	v_lshlrev_b64 v[0:1], 2, v[0:1]
	v_lshl_add_u64 v[2:3], s[16:17], 0, v[0:1]
	v_lshl_add_u64 v[0:1], s[28:29], 0, v[0:1]
	global_load_dword v41, v[2:3], off offset:4
	s_nop 0
	global_load_dword v2, v[0:1], off sc1
	s_waitcnt vmcnt(0)
	v_cmp_eq_u32_e32 vcc, 0, v2
	s_and_saveexec_b64 s[0:1], vcc
	s_cbranch_execz .LBB21_19
; %bb.15:                               ;   in Loop: Header=BB21_13 Depth=1
	s_mov_b32 s52, 0
	s_mov_b64 s[12:13], 0
	s_branch .LBB21_17
.LBB21_16:                              ;   in Loop: Header=BB21_17 Depth=2
	global_load_dword v2, v[0:1], off sc1
	s_cmpk_lt_u32 s52, 0xf43
	s_cselect_b64 s[54:55], -1, 0
	s_cmp_lg_u64 s[54:55], 0
	s_addc_u32 s52, s52, 0
	s_waitcnt vmcnt(0)
	v_cmp_ne_u32_e32 vcc, 0, v2
	s_or_b64 s[12:13], vcc, s[12:13]
	s_andn2_b64 exec, exec, s[12:13]
	s_cbranch_execz .LBB21_19
.LBB21_17:                              ;   Parent Loop BB21_13 Depth=1
                                        ; =>  This Loop Header: Depth=2
                                        ;       Child Loop BB21_18 Depth 3
	s_cmp_eq_u32 s52, 0
	s_mov_b32 s53, s52
	s_cbranch_scc1 .LBB21_16
.LBB21_18:                              ;   Parent Loop BB21_13 Depth=1
                                        ;     Parent Loop BB21_17 Depth=2
                                        ; =>    This Inner Loop Header: Depth=3
	s_add_i32 s53, s53, -1
	s_cmp_eq_u32 s53, 0
	s_sleep 1
	s_cbranch_scc0 .LBB21_18
	s_branch .LBB21_16
.LBB21_19:                              ;   in Loop: Header=BB21_13 Depth=1
	s_or_b64 exec, exec, s[0:1]
	s_and_b64 vcc, exec, s[8:9]
	v_mul_lo_u32 v25, v24, s33
	buffer_inv sc1
	s_cbranch_vccnz .LBB21_46
; %bb.20:                               ;   in Loop: Header=BB21_13 Depth=1
	v_mad_u64_u32 v[30:31], s[0:1], s37, v40, 1
	v_mul_lo_u32 v42, v40, s33
	v_mov_b32_e32 v32, 0
	s_mov_b64 s[52:53], 0
	s_mov_b32 s63, s62
	v_mov_b32_e32 v31, v27
	s_branch .LBB21_23
.LBB21_21:                              ;   in Loop: Header=BB21_23 Depth=2
	s_or_b64 exec, exec, s[56:57]
	v_mov_b32_e32 v32, v43
.LBB21_22:                              ;   in Loop: Header=BB21_23 Depth=2
	s_or_b64 exec, exec, s[54:55]
	s_add_i32 s63, s63, -1
	v_cmp_eq_u32_e32 vcc, s33, v32
	v_add_u32_e32 v30, s60, v30
	s_or_b64 s[52:53], vcc, s[52:53]
	v_add_u32_e32 v31, 1, v31
	s_andn2_b64 exec, exec, s[52:53]
	s_cbranch_execz .LBB21_45
.LBB21_23:                              ;   Parent Loop BB21_13 Depth=1
                                        ; =>  This Loop Header: Depth=2
                                        ;       Child Loop BB21_28 Depth 3
                                        ;         Child Loop BB21_37 Depth 4
	v_add_u32_e32 v43, 1, v32
	s_and_saveexec_b64 s[0:1], s[4:5]
	s_xor_b64 s[0:1], exec, s[0:1]
; %bb.24:                               ;   in Loop: Header=BB21_23 Depth=2
	v_add_u32_e32 v32, 1, v32
                                        ; implicit-def: $vgpr43
; %bb.25:                               ;   in Loop: Header=BB21_23 Depth=2
	s_andn2_saveexec_b64 s[54:55], s[0:1]
	s_cbranch_execz .LBB21_22
; %bb.26:                               ;   in Loop: Header=BB21_23 Depth=2
	v_add_u32_e32 v0, v32, v42
	v_mad_u64_u32 v[0:1], s[0:1], v0, s33, v[32:33]
	v_ashrrev_i32_e32 v1, 31, v0
	v_lshl_add_u64 v[0:1], v[0:1], 4, s[20:21]
	global_load_dwordx4 v[0:3], v[0:1], off
	v_add_u32_e32 v10, v32, v25
	v_mul_lo_u32 v45, v10, s33
	v_cmp_gt_i32_e64 s[12:13], s33, v43
	s_mov_b64 s[56:57], 0
	v_mov_b32_e32 v44, v31
	v_mov_b32_e32 v36, v18
	s_waitcnt vmcnt(0)
	v_mul_f64 v[4:5], v[2:3], v[2:3]
	v_fmac_f64_e32 v[4:5], v[0:1], v[0:1]
	v_div_scale_f64 v[6:7], s[0:1], v[4:5], v[4:5], 1.0
	v_rcp_f64_e32 v[8:9], v[6:7]
	v_div_scale_f64 v[10:11], vcc, 1.0, v[4:5], 1.0
	v_fma_f64 v[12:13], -v[6:7], v[8:9], 1.0
	v_fmac_f64_e32 v[8:9], v[8:9], v[12:13]
	v_fma_f64 v[12:13], -v[6:7], v[8:9], 1.0
	v_fmac_f64_e32 v[8:9], v[8:9], v[12:13]
	v_mul_f64 v[12:13], v[10:11], v[8:9]
	v_fma_f64 v[6:7], -v[6:7], v[12:13], v[10:11]
	v_div_fmas_f64 v[6:7], v[6:7], v[8:9], v[12:13]
	v_div_fixup_f64 v[34:35], v[6:7], v[4:5], 1.0
	s_branch .LBB21_28
.LBB21_27:                              ;   in Loop: Header=BB21_28 Depth=3
	s_or_b64 exec, exec, s[58:59]
	v_add_u32_e32 v36, 64, v36
	v_cmp_le_i32_e32 vcc, s33, v36
	s_or_b64 s[56:57], vcc, s[56:57]
	v_add_u32_e32 v44, s61, v44
	s_andn2_b64 exec, exec, s[56:57]
	s_cbranch_execz .LBB21_21
.LBB21_28:                              ;   Parent Loop BB21_13 Depth=1
                                        ;     Parent Loop BB21_23 Depth=2
                                        ; =>    This Loop Header: Depth=3
                                        ;         Child Loop BB21_37 Depth 4
	s_and_b64 vcc, exec, s[40:41]
	v_add_u32_e32 v10, v36, v45
	s_cbranch_vccz .LBB21_43
; %bb.29:                               ;   in Loop: Header=BB21_28 Depth=3
	v_add_u32_e32 v4, v36, v45
	v_add_u32_e32 v11, v36, v25
	s_cbranch_execnz .LBB21_31
.LBB21_30:                              ;   in Loop: Header=BB21_28 Depth=3
	v_mad_u64_u32 v[4:5], s[0:1], v11, s33, v[32:33]
.LBB21_31:                              ;   in Loop: Header=BB21_28 Depth=3
	v_ashrrev_i32_e32 v5, 31, v4
	v_lshl_add_u64 v[4:5], v[4:5], 4, s[20:21]
	global_load_dwordx4 v[6:9], v[4:5], off
	s_and_b64 vcc, exec, s[40:41]
	s_cbranch_vccz .LBB21_44
; %bb.32:                               ;   in Loop: Header=BB21_28 Depth=3
	s_cbranch_execnz .LBB21_34
.LBB21_33:                              ;   in Loop: Header=BB21_28 Depth=3
	v_mad_u64_u32 v[10:11], s[0:1], v11, s33, v[32:33]
.LBB21_34:                              ;   in Loop: Header=BB21_28 Depth=3
	s_waitcnt vmcnt(0)
	v_mul_f64 v[4:5], v[2:3], v[8:9]
	v_fmac_f64_e32 v[4:5], v[6:7], v[0:1]
	v_mul_f64 v[6:7], v[2:3], -v[6:7]
	v_fmac_f64_e32 v[6:7], v[8:9], v[0:1]
	v_ashrrev_i32_e32 v11, 31, v10
	v_mul_f64 v[4:5], v[34:35], v[4:5]
	v_mul_f64 v[6:7], v[34:35], v[6:7]
	v_lshl_add_u64 v[8:9], v[10:11], 4, s[20:21]
	global_store_dwordx4 v[8:9], v[4:7], off
	s_and_saveexec_b64 s[58:59], s[12:13]
	s_cbranch_execz .LBB21_27
; %bb.35:                               ;   in Loop: Header=BB21_28 Depth=3
	s_mov_b32 s64, s63
	v_mov_b32_e32 v46, v44
	v_mov_b32_e32 v47, v30
	;; [unrolled: 1-line block ×3, first 2 shown]
	s_branch .LBB21_37
.LBB21_36:                              ;   in Loop: Header=BB21_37 Depth=4
	s_waitcnt vmcnt(0)
	v_fma_f64 v[12:13], -v[4:5], v[8:9], v[12:13]
	v_fma_f64 v[8:9], -v[6:7], v[8:9], v[14:15]
	v_ashrrev_i32_e32 v39, 31, v38
	s_add_i32 s64, s64, -1
	v_fmac_f64_e32 v[12:13], v[6:7], v[10:11]
	v_fma_f64 v[14:15], -v[4:5], v[10:11], v[8:9]
	v_lshl_add_u64 v[8:9], v[38:39], 4, s[20:21]
	v_add_u32_e32 v48, 1, v48
	v_add_u32_e32 v47, 1, v47
	s_cmp_eq_u32 s64, 0
	v_add_u32_e32 v46, 1, v46
	global_store_dwordx4 v[8:9], v[12:15], off
	s_cbranch_scc1 .LBB21_27
.LBB21_37:                              ;   Parent Loop BB21_13 Depth=1
                                        ;     Parent Loop BB21_23 Depth=2
                                        ;       Parent Loop BB21_28 Depth=3
                                        ; =>      This Inner Loop Header: Depth=4
	v_cndmask_b32_e64 v8, 0, 1, s[40:41]
	v_cmp_ne_u32_e64 s[0:1], 1, v8
	s_andn2_b64 vcc, exec, s[40:41]
	v_mov_b32_e32 v8, v47
	s_cbranch_vccnz .LBB21_39
; %bb.38:                               ;   in Loop: Header=BB21_37 Depth=4
	v_add_u32_e32 v8, v48, v42
	v_mad_u64_u32 v[8:9], s[66:67], v8, s33, v[32:33]
.LBB21_39:                              ;   in Loop: Header=BB21_37 Depth=4
	v_ashrrev_i32_e32 v9, 31, v8
	v_lshl_add_u64 v[8:9], v[8:9], 4, s[20:21]
	global_load_dwordx4 v[8:11], v[8:9], off
	s_and_b64 vcc, exec, s[0:1]
	v_add_u32_e32 v39, v48, v25
	v_mov_b32_e32 v12, v46
	s_cbranch_vccnz .LBB21_41
; %bb.40:                               ;   in Loop: Header=BB21_37 Depth=4
	v_mad_u64_u32 v[12:13], s[66:67], v39, s33, v[36:37]
.LBB21_41:                              ;   in Loop: Header=BB21_37 Depth=4
	v_ashrrev_i32_e32 v13, 31, v12
	v_lshl_add_u64 v[12:13], v[12:13], 4, s[20:21]
	global_load_dwordx4 v[12:15], v[12:13], off
	s_and_b64 vcc, exec, s[0:1]
	v_mov_b32_e32 v38, v46
	s_cbranch_vccnz .LBB21_36
; %bb.42:                               ;   in Loop: Header=BB21_37 Depth=4
	v_mad_u64_u32 v[38:39], s[0:1], v39, s33, v[36:37]
	s_branch .LBB21_36
.LBB21_43:                              ;   in Loop: Header=BB21_28 Depth=3
                                        ; implicit-def: $vgpr4
	v_add_u32_e32 v11, v36, v25
	s_branch .LBB21_30
.LBB21_44:                              ;   in Loop: Header=BB21_28 Depth=3
                                        ; implicit-def: $vgpr10
	s_branch .LBB21_33
.LBB21_45:                              ;   in Loop: Header=BB21_13 Depth=1
	s_or_b64 exec, exec, s[52:53]
.LBB21_46:                              ;   in Loop: Header=BB21_13 Depth=1
	v_subrev_u32_e32 v7, s34, v41
	v_add_u32_e32 v4, 1, v40
	v_cmp_lt_i32_e32 vcc, v4, v7
	s_and_saveexec_b64 s[0:1], vcc
	s_cbranch_execz .LBB21_11
; %bb.47:                               ;   in Loop: Header=BB21_13 Depth=1
	v_mul_lo_u32 v14, s37, v4
	s_mov_b64 s[12:13], 0
	s_branch .LBB21_50
.LBB21_48:                              ;   in Loop: Header=BB21_50 Depth=2
	s_or_b64 exec, exec, s[52:53]
.LBB21_49:                              ;   in Loop: Header=BB21_50 Depth=2
	v_add_u32_e32 v4, 1, v4
	v_cmp_ge_i32_e32 vcc, v4, v7
	s_or_b64 s[12:13], vcc, s[12:13]
	v_add_u32_e32 v14, s37, v14
	s_andn2_b64 exec, exec, s[12:13]
	s_cbranch_execz .LBB21_11
.LBB21_50:                              ;   Parent Loop BB21_13 Depth=1
                                        ; =>  This Loop Header: Depth=2
                                        ;       Child Loop BB21_55 Depth 3
                                        ;       Child Loop BB21_62 Depth 3
                                        ;         Child Loop BB21_64 Depth 4
                                        ;           Child Loop BB21_66 Depth 5
	v_ashrrev_i32_e32 v5, 31, v4
	s_waitcnt lgkmcnt(0)
	v_lshl_add_u64 v[0:1], v[4:5], 2, s[18:19]
	global_load_dword v0, v[0:1], off
	v_mov_b32_e32 v1, s35
	s_and_saveexec_b64 s[52:53], s[6:7]
	s_cbranch_execz .LBB21_52
; %bb.51:                               ;   in Loop: Header=BB21_50 Depth=2
	global_load_dword v1, v[28:29], off
	s_waitcnt vmcnt(0)
	v_subrev_u32_e32 v1, s34, v1
.LBB21_52:                              ;   in Loop: Header=BB21_50 Depth=2
	s_or_b64 exec, exec, s[52:53]
	s_waitcnt vmcnt(0)
	v_subrev_u32_e32 v2, s34, v0
	v_cmp_lt_i32_e32 vcc, v1, v2
	v_mov_b32_e32 v3, v26
	s_and_saveexec_b64 s[52:53], vcc
	s_cbranch_execz .LBB21_58
; %bb.53:                               ;   in Loop: Header=BB21_50 Depth=2
	s_mov_b64 s[54:55], 0
	v_mov_b32_e32 v0, v26
	s_branch .LBB21_55
.LBB21_54:                              ;   in Loop: Header=BB21_55 Depth=3
	s_or_b64 exec, exec, s[56:57]
	v_cmp_ge_i32_e32 vcc, v1, v2
	s_or_b64 s[54:55], vcc, s[54:55]
	v_mov_b32_e32 v0, v3
	s_andn2_b64 exec, exec, s[54:55]
	s_cbranch_execz .LBB21_57
.LBB21_55:                              ;   Parent Loop BB21_13 Depth=1
                                        ;     Parent Loop BB21_50 Depth=2
                                        ; =>    This Inner Loop Header: Depth=3
	v_add_u32_e32 v3, 64, v0
	v_cmp_lt_i32_e32 vcc, v3, v19
	v_mov_b32_e32 v1, s35
	s_and_saveexec_b64 s[56:57], vcc
	s_cbranch_execz .LBB21_54
; %bb.56:                               ;   in Loop: Header=BB21_55 Depth=3
	v_ashrrev_i32_e32 v1, 31, v0
	v_lshl_add_u64 v[0:1], v[0:1], 2, s[18:19]
	global_load_dword v0, v[0:1], off offset:256
	s_waitcnt vmcnt(0)
	v_subrev_u32_e32 v1, s34, v0
	s_branch .LBB21_54
.LBB21_57:                              ;   in Loop: Header=BB21_50 Depth=2
	s_or_b64 exec, exec, s[54:55]
.LBB21_58:                              ;   in Loop: Header=BB21_50 Depth=2
	s_or_b64 exec, exec, s[52:53]
	v_cmp_eq_u32_e32 vcc, v1, v2
	s_cbranch_vccz .LBB21_49
; %bb.59:                               ;   in Loop: Header=BB21_50 Depth=2
	s_ff1_i32_b64 s52, vcc
	v_and_or_b32 v0, v37, 64, s52
	v_lshlrev_b32_e32 v0, 2, v0
	ds_bpermute_b32 v0, v0, v3
	s_and_saveexec_b64 s[52:53], s[2:3]
	s_cbranch_execz .LBB21_48
; %bb.60:                               ;   in Loop: Header=BB21_50 Depth=2
	v_mul_lo_u32 v5, v4, s33
	s_waitcnt lgkmcnt(0)
	v_mul_lo_u32 v15, v0, s33
	s_mov_b64 s[54:55], 0
	v_mov_b32_e32 v30, v21
	v_mov_b32_e32 v6, v18
	s_branch .LBB21_62
.LBB21_61:                              ;   in Loop: Header=BB21_62 Depth=3
	v_add_u32_e32 v6, 64, v6
	v_cmp_le_i32_e32 vcc, s33, v6
	s_or_b64 s[54:55], vcc, s[54:55]
	v_add_u32_e32 v30, s61, v30
	s_andn2_b64 exec, exec, s[54:55]
	s_cbranch_execz .LBB21_48
.LBB21_62:                              ;   Parent Loop BB21_13 Depth=1
                                        ;     Parent Loop BB21_50 Depth=2
                                        ; =>    This Loop Header: Depth=3
                                        ;         Child Loop BB21_64 Depth 4
                                        ;           Child Loop BB21_66 Depth 5
	v_add_u32_e32 v0, v6, v15
	v_mul_lo_u32 v31, v0, s33
	s_mov_b32 s58, 0
	v_mov_b32_e32 v32, v14
	s_branch .LBB21_64
.LBB21_63:                              ;   in Loop: Header=BB21_64 Depth=4
	v_ashrrev_i32_e32 v1, 31, v0
	v_lshl_add_u64 v[12:13], v[0:1], 4, s[20:21]
	global_load_dwordx4 v[0:3], v[12:13], off
	s_add_i32 s58, s58, 1
	s_cmp_eq_u32 s58, s33
	v_add_u32_e32 v32, 1, v32
	s_waitcnt vmcnt(0)
	v_add_f64 v[0:1], v[0:1], -v[8:9]
	v_add_f64 v[2:3], v[2:3], -v[10:11]
	global_store_dwordx4 v[12:13], v[0:3], off
	s_cbranch_scc1 .LBB21_61
.LBB21_64:                              ;   Parent Loop BB21_13 Depth=1
                                        ;     Parent Loop BB21_50 Depth=2
                                        ;       Parent Loop BB21_62 Depth=3
                                        ; =>      This Loop Header: Depth=4
                                        ;           Child Loop BB21_66 Depth 5
	s_nop 0
	v_add_u32_e32 v0, s58, v5
	v_mul_lo_u32 v34, v0, s33
	v_mov_b64_e32 v[8:9], 0
	v_mov_b32_e32 v35, v32
	s_mov_b32 s59, 0
	v_mov_b64_e32 v[10:11], 0
	s_branch .LBB21_66
.LBB21_65:                              ;   in Loop: Header=BB21_66 Depth=5
	v_ashrrev_i32_e32 v13, 31, v12
	v_lshl_add_u64 v[12:13], v[12:13], 4, s[20:21]
	global_load_dwordx4 v[38:41], v[12:13], off
	s_add_i32 s59, s59, 1
	s_cmp_eq_u32 s33, s59
	v_add_u32_e32 v35, s33, v35
	s_waitcnt vmcnt(0)
	v_fmac_f64_e32 v[8:9], v[0:1], v[38:39]
	v_fmac_f64_e32 v[10:11], v[2:3], v[38:39]
	v_fma_f64 v[8:9], -v[2:3], v[40:41], v[8:9]
	v_fmac_f64_e32 v[10:11], v[0:1], v[40:41]
	s_cbranch_scc1 .LBB21_72
.LBB21_66:                              ;   Parent Loop BB21_13 Depth=1
                                        ;     Parent Loop BB21_50 Depth=2
                                        ;       Parent Loop BB21_62 Depth=3
                                        ;         Parent Loop BB21_64 Depth=4
                                        ; =>        This Inner Loop Header: Depth=5
	s_and_b64 vcc, exec, s[40:41]
	s_cbranch_vccz .LBB21_71
; %bb.67:                               ;   in Loop: Header=BB21_66 Depth=5
	v_add_u32_e32 v0, s59, v25
	v_mad_u64_u32 v[0:1], s[56:57], v0, s33, v[6:7]
	s_cbranch_execnz .LBB21_69
.LBB21_68:                              ;   in Loop: Header=BB21_66 Depth=5
	v_add_u32_e32 v0, s59, v30
.LBB21_69:                              ;   in Loop: Header=BB21_66 Depth=5
	v_ashrrev_i32_e32 v1, 31, v0
	v_lshl_add_u64 v[0:1], v[0:1], 4, s[20:21]
	global_load_dwordx4 v[0:3], v[0:1], off
	s_andn2_b64 vcc, exec, s[40:41]
	v_mov_b32_e32 v12, v35
	s_cbranch_vccnz .LBB21_65
; %bb.70:                               ;   in Loop: Header=BB21_66 Depth=5
	v_add_u32_e32 v12, s59, v34
	s_branch .LBB21_65
.LBB21_71:                              ;   in Loop: Header=BB21_66 Depth=5
                                        ; implicit-def: $vgpr0
	s_branch .LBB21_68
.LBB21_72:                              ;   in Loop: Header=BB21_64 Depth=4
	s_and_b64 vcc, exec, s[40:41]
	s_cbranch_vccz .LBB21_74
; %bb.73:                               ;   in Loop: Header=BB21_64 Depth=4
	v_add_u32_e32 v0, s58, v15
	v_mad_u64_u32 v[0:1], s[56:57], v0, s33, v[6:7]
	s_cbranch_execnz .LBB21_63
	s_branch .LBB21_75
.LBB21_74:                              ;   in Loop: Header=BB21_64 Depth=4
                                        ; implicit-def: $vgpr0
.LBB21_75:                              ;   in Loop: Header=BB21_64 Depth=4
	v_add_u32_e32 v0, s58, v31
	s_branch .LBB21_63
.LBB21_76:
	s_or_b64 exec, exec, s[42:43]
	s_and_b64 s[6:7], s[44:45], exec
.LBB21_77:
	s_or_b64 exec, exec, s[38:39]
	v_ashrrev_i32_e32 v21, 31, v20
	s_waitcnt lgkmcnt(0)
	v_lshl_add_u64 v[0:1], v[20:21], 2, s[18:19]
	global_load_dword v0, v[0:1], off
	s_cmp_gt_i32 s33, 0
	s_cselect_b64 s[8:9], -1, 0
	s_waitcnt vmcnt(0)
	v_subrev_u32_e32 v0, s34, v0
	v_cmp_eq_u32_e32 vcc, v0, v16
	s_and_b64 s[0:1], s[8:9], vcc
	s_and_saveexec_b64 s[10:11], s[0:1]
	s_cbranch_execz .LBB21_117
; %bb.78:
	s_cmp_eq_u64 s[24:25], 8
	v_cvt_f64_f32_e32 v[0:1], v33
	s_cselect_b64 vcc, -1, 0
	v_mul_lo_u32 v21, v20, s33
	v_cndmask_b32_e32 v22, v0, v22, vcc
	s_cmp_lg_u32 s36, 0
	s_mul_i32 s0, s33, s33
	v_add_u32_e32 v0, v21, v18
	s_cselect_b64 s[12:13], -1, 0
	v_mad_u64_u32 v[24:25], s[0:1], v20, s0, 1
	s_add_i32 s35, s33, 1
	v_mul_lo_u32 v0, s33, v0
	s_mov_b32 s18, 0
	v_cndmask_b32_e32 v23, v1, v23, vcc
	v_cmp_eq_u32_e64 s[2:3], 0, v18
	v_add_u32_e32 v25, s35, v0
	s_lshl_b32 s37, s33, 6
	s_add_i32 s48, s33, -1
	v_mov_b32_e32 v26, 0
	s_mov_b64 s[16:17], 0
	s_brev_b32 s19, 8
	v_mov_b32_e32 v27, 0x260
	v_mov_b32_e32 v29, 0x100
	;; [unrolled: 1-line block ×5, first 2 shown]
	s_mov_b64 s[24:25], s[6:7]
                                        ; implicit-def: $sgpr22_sgpr23
	s_branch .LBB21_80
.LBB21_79:                              ;   in Loop: Header=BB21_80 Depth=1
	s_or_b64 exec, exec, s[0:1]
	s_add_i32 s48, s48, -1
	v_cmp_eq_u32_e32 vcc, s33, v38
	s_or_b64 s[16:17], vcc, s[16:17]
	s_andn2_b64 s[0:1], s[22:23], exec
	s_and_b64 s[4:5], s[24:25], exec
	v_add_u32_e32 v24, s35, v24
	v_add_u32_e32 v25, s35, v25
	s_or_b64 s[22:23], s[0:1], s[4:5]
	v_mov_b32_e32 v26, v38
	s_andn2_b64 exec, exec, s[16:17]
	s_cbranch_execz .LBB21_116
.LBB21_80:                              ; =>This Loop Header: Depth=1
                                        ;     Child Loop BB21_96 Depth 2
                                        ;       Child Loop BB21_105 Depth 3
	v_add_u32_e32 v0, v26, v21
	v_mul_lo_u32 v37, v0, s33
	v_add_u32_e32 v0, v37, v26
	v_ashrrev_i32_e32 v1, 31, v0
	v_lshl_add_u64 v[4:5], v[0:1], 4, s[20:21]
	global_load_dwordx4 v[0:3], v[4:5], off
	s_mov_b64 s[0:1], -1
	s_and_b64 vcc, exec, s[14:15]
	s_mov_b64 s[4:5], 0
	s_waitcnt vmcnt(0)
	scratch_store_dwordx4 off, v[0:3], off offset:16
	s_cbranch_vccz .LBB21_83
; %bb.81:                               ;   in Loop: Header=BB21_80 Depth=1
	s_mov_b64 s[38:39], 0
	s_and_b64 vcc, exec, s[0:1]
	s_cbranch_vccnz .LBB21_92
.LBB21_82:                              ;   in Loop: Header=BB21_80 Depth=1
                                        ; implicit-def: $vgpr38
	s_and_saveexec_b64 s[0:1], s[4:5]
	s_xor_b64 s[40:41], exec, s[0:1]
	s_cbranch_execnz .LBB21_93
	s_branch .LBB21_114
.LBB21_83:                              ;   in Loop: Header=BB21_80 Depth=1
	v_xor_b32_e32 v6, 0x80000000, v1
	v_cmp_gt_f64_e32 vcc, 0, v[0:1]
	v_xor_b32_e32 v8, 0x80000000, v3
                                        ; implicit-def: $vgpr10_vgpr11
	s_nop 0
	v_cndmask_b32_e32 v7, v1, v6, vcc
	v_cmp_gt_f64_e32 vcc, 0, v[2:3]
	v_mov_b32_e32 v6, v0
	s_nop 0
	v_cndmask_b32_e32 v9, v3, v8, vcc
	v_mov_b32_e32 v8, v2
	v_cmp_ngt_f64_e32 vcc, v[6:7], v[8:9]
	s_and_saveexec_b64 s[0:1], vcc
	s_xor_b64 s[0:1], exec, s[0:1]
	s_cbranch_execz .LBB21_87
; %bb.84:                               ;   in Loop: Header=BB21_80 Depth=1
	v_mov_b64_e32 v[10:11], 0
	v_cmp_neq_f64_e32 vcc, 0, v[2:3]
	s_and_saveexec_b64 s[4:5], vcc
	s_cbranch_execz .LBB21_86
; %bb.85:                               ;   in Loop: Header=BB21_80 Depth=1
	v_div_scale_f64 v[10:11], s[38:39], v[8:9], v[8:9], v[6:7]
	v_rcp_f64_e32 v[12:13], v[10:11]
	v_div_scale_f64 v[14:15], vcc, v[6:7], v[8:9], v[6:7]
	v_fma_f64 v[30:31], -v[10:11], v[12:13], 1.0
	v_fmac_f64_e32 v[12:13], v[12:13], v[30:31]
	v_fma_f64 v[30:31], -v[10:11], v[12:13], 1.0
	v_fmac_f64_e32 v[12:13], v[12:13], v[30:31]
	v_mul_f64 v[30:31], v[14:15], v[12:13]
	v_fma_f64 v[10:11], -v[10:11], v[30:31], v[14:15]
	v_div_fmas_f64 v[10:11], v[10:11], v[12:13], v[30:31]
	v_div_fixup_f64 v[6:7], v[10:11], v[8:9], v[6:7]
	v_fma_f64 v[6:7], v[6:7], v[6:7], 1.0
	v_cmp_gt_f64_e32 vcc, s[18:19], v[6:7]
	s_nop 1
	v_cndmask_b32_e32 v10, 0, v29, vcc
	v_ldexp_f64 v[6:7], v[6:7], v10
	v_rsq_f64_e32 v[10:11], v[6:7]
	s_nop 0
	v_mul_f64 v[12:13], v[6:7], v[10:11]
	v_mul_f64 v[10:11], v[10:11], 0.5
	v_fma_f64 v[14:15], -v[10:11], v[12:13], 0.5
	v_fmac_f64_e32 v[12:13], v[12:13], v[14:15]
	v_fma_f64 v[30:31], -v[12:13], v[12:13], v[6:7]
	v_fmac_f64_e32 v[10:11], v[10:11], v[14:15]
	v_fmac_f64_e32 v[12:13], v[30:31], v[10:11]
	v_fma_f64 v[14:15], -v[12:13], v[12:13], v[6:7]
	v_fmac_f64_e32 v[12:13], v[14:15], v[10:11]
	v_cndmask_b32_e32 v10, 0, v34, vcc
	v_ldexp_f64 v[10:11], v[12:13], v10
	v_cmp_class_f64_e32 vcc, v[6:7], v27
	s_nop 1
	v_cndmask_b32_e32 v7, v11, v7, vcc
	v_cndmask_b32_e32 v6, v10, v6, vcc
	v_mul_f64 v[10:11], v[8:9], v[6:7]
.LBB21_86:                              ;   in Loop: Header=BB21_80 Depth=1
	s_or_b64 exec, exec, s[4:5]
                                        ; implicit-def: $vgpr6_vgpr7
                                        ; implicit-def: $vgpr8_vgpr9
.LBB21_87:                              ;   in Loop: Header=BB21_80 Depth=1
	s_andn2_saveexec_b64 s[0:1], s[0:1]
	s_cbranch_execz .LBB21_89
; %bb.88:                               ;   in Loop: Header=BB21_80 Depth=1
	v_div_scale_f64 v[10:11], s[4:5], v[6:7], v[6:7], v[8:9]
	v_rcp_f64_e32 v[12:13], v[10:11]
	v_div_scale_f64 v[14:15], vcc, v[8:9], v[6:7], v[8:9]
	v_fma_f64 v[30:31], -v[10:11], v[12:13], 1.0
	v_fmac_f64_e32 v[12:13], v[12:13], v[30:31]
	v_fma_f64 v[30:31], -v[10:11], v[12:13], 1.0
	v_fmac_f64_e32 v[12:13], v[12:13], v[30:31]
	v_mul_f64 v[30:31], v[14:15], v[12:13]
	v_fma_f64 v[10:11], -v[10:11], v[30:31], v[14:15]
	v_div_fmas_f64 v[10:11], v[10:11], v[12:13], v[30:31]
	v_div_fixup_f64 v[8:9], v[10:11], v[6:7], v[8:9]
	v_fma_f64 v[8:9], v[8:9], v[8:9], 1.0
	v_cmp_gt_f64_e32 vcc, s[18:19], v[8:9]
	s_nop 1
	v_cndmask_b32_e32 v10, 0, v29, vcc
	v_ldexp_f64 v[8:9], v[8:9], v10
	v_rsq_f64_e32 v[10:11], v[8:9]
	s_nop 0
	v_mul_f64 v[12:13], v[8:9], v[10:11]
	v_mul_f64 v[10:11], v[10:11], 0.5
	v_fma_f64 v[14:15], -v[10:11], v[12:13], 0.5
	v_fmac_f64_e32 v[12:13], v[12:13], v[14:15]
	v_fma_f64 v[30:31], -v[12:13], v[12:13], v[8:9]
	v_fmac_f64_e32 v[10:11], v[10:11], v[14:15]
	v_fmac_f64_e32 v[12:13], v[30:31], v[10:11]
	v_fma_f64 v[14:15], -v[12:13], v[12:13], v[8:9]
	v_fmac_f64_e32 v[12:13], v[14:15], v[10:11]
	v_cndmask_b32_e32 v10, 0, v34, vcc
	v_ldexp_f64 v[10:11], v[12:13], v10
	v_cmp_class_f64_e32 vcc, v[8:9], v27
	s_nop 1
	v_cndmask_b32_e32 v9, v11, v9, vcc
	v_cndmask_b32_e32 v8, v10, v8, vcc
	v_mul_f64 v[10:11], v[6:7], v[8:9]
.LBB21_89:                              ;   in Loop: Header=BB21_80 Depth=1
	s_or_b64 exec, exec, s[0:1]
	v_cmp_ge_f64_e32 vcc, v[22:23], v[10:11]
	s_nop 1
	v_cndmask_b32_e32 v6, v35, v36, vcc
	scratch_load_dwordx4 v[8:11], v6, off
	s_waitcnt vmcnt(0)
	scratch_store_dwordx4 off, v[8:11], off offset:16
	s_and_saveexec_b64 s[0:1], s[2:3]
	s_cbranch_execz .LBB21_91
; %bb.90:                               ;   in Loop: Header=BB21_80 Depth=1
	scratch_load_dwordx4 v[6:9], v6, off
	s_waitcnt vmcnt(0)
	global_store_dwordx4 v[4:5], v[6:9], off
.LBB21_91:                              ;   in Loop: Header=BB21_80 Depth=1
	s_or_b64 exec, exec, s[0:1]
	s_mov_b64 s[4:5], -1
	s_mov_b64 s[38:39], 0
	s_branch .LBB21_82
.LBB21_92:                              ;   in Loop: Header=BB21_80 Depth=1
	v_cmp_neq_f64_e32 vcc, 0, v[0:1]
	v_cmp_neq_f64_e64 s[0:1], 0, v[2:3]
	s_or_b64 s[0:1], vcc, s[0:1]
	s_andn2_b64 s[4:5], s[4:5], exec
	s_and_b64 s[0:1], s[0:1], exec
	s_mov_b64 s[38:39], -1
	s_or_b64 s[4:5], s[4:5], s[0:1]
                                        ; implicit-def: $vgpr38
	s_and_saveexec_b64 s[0:1], s[4:5]
	s_xor_b64 s[40:41], exec, s[0:1]
	s_cbranch_execz .LBB21_114
.LBB21_93:                              ;   in Loop: Header=BB21_80 Depth=1
	v_add_u32_e32 v38, 1, v26
	v_add_u32_e32 v28, v38, v18
	v_cmp_gt_i32_e32 vcc, s33, v28
	s_and_saveexec_b64 s[42:43], vcc
	s_cbranch_execz .LBB21_113
; %bb.94:                               ;   in Loop: Header=BB21_80 Depth=1
	scratch_load_dwordx4 v[0:3], off, off offset:16
	v_cmp_gt_i32_e64 s[4:5], s33, v38
	s_mov_b64 s[44:45], 0
	v_mov_b32_e32 v39, v25
	s_waitcnt vmcnt(0)
	v_mul_f64 v[4:5], v[2:3], v[2:3]
	v_fmac_f64_e32 v[4:5], v[0:1], v[0:1]
	v_div_scale_f64 v[6:7], s[0:1], v[4:5], v[4:5], 1.0
	v_rcp_f64_e32 v[8:9], v[6:7]
	v_div_scale_f64 v[10:11], vcc, 1.0, v[4:5], 1.0
	v_fma_f64 v[12:13], -v[6:7], v[8:9], 1.0
	v_fmac_f64_e32 v[8:9], v[8:9], v[12:13]
	v_fma_f64 v[12:13], -v[6:7], v[8:9], 1.0
	v_fmac_f64_e32 v[8:9], v[8:9], v[12:13]
	v_mul_f64 v[12:13], v[10:11], v[8:9]
	v_fma_f64 v[6:7], -v[6:7], v[12:13], v[10:11]
	v_div_fmas_f64 v[6:7], v[6:7], v[8:9], v[12:13]
	v_div_fixup_f64 v[30:31], v[6:7], v[4:5], 1.0
	s_branch .LBB21_96
.LBB21_95:                              ;   in Loop: Header=BB21_96 Depth=2
	s_or_b64 exec, exec, s[46:47]
	v_add_u32_e32 v28, 64, v28
	v_cmp_le_i32_e32 vcc, s33, v28
	s_or_b64 s[44:45], vcc, s[44:45]
	v_add_u32_e32 v39, s37, v39
	s_andn2_b64 exec, exec, s[44:45]
	s_cbranch_execz .LBB21_113
.LBB21_96:                              ;   Parent Loop BB21_80 Depth=1
                                        ; =>  This Loop Header: Depth=2
                                        ;       Child Loop BB21_105 Depth 3
	s_and_b64 vcc, exec, s[12:13]
	v_add_u32_e32 v10, v28, v37
	s_cbranch_vccz .LBB21_111
; %bb.97:                               ;   in Loop: Header=BB21_96 Depth=2
	v_add_u32_e32 v4, v28, v37
	s_cbranch_execnz .LBB21_99
.LBB21_98:                              ;   in Loop: Header=BB21_96 Depth=2
	v_add_u32_e32 v4, v28, v21
	v_mad_u64_u32 v[4:5], s[0:1], v4, s33, v[26:27]
.LBB21_99:                              ;   in Loop: Header=BB21_96 Depth=2
	v_ashrrev_i32_e32 v5, 31, v4
	v_lshl_add_u64 v[4:5], v[4:5], 4, s[20:21]
	global_load_dwordx4 v[6:9], v[4:5], off
	s_and_b64 vcc, exec, s[12:13]
	s_cbranch_vccz .LBB21_112
; %bb.100:                              ;   in Loop: Header=BB21_96 Depth=2
	s_cbranch_execnz .LBB21_102
.LBB21_101:                             ;   in Loop: Header=BB21_96 Depth=2
	v_add_u32_e32 v4, v28, v21
	v_mad_u64_u32 v[10:11], s[0:1], v4, s33, v[26:27]
.LBB21_102:                             ;   in Loop: Header=BB21_96 Depth=2
	s_waitcnt vmcnt(0)
	v_mul_f64 v[4:5], v[2:3], v[8:9]
	v_fmac_f64_e32 v[4:5], v[6:7], v[0:1]
	v_mul_f64 v[6:7], v[2:3], -v[6:7]
	v_fmac_f64_e32 v[6:7], v[8:9], v[0:1]
	v_ashrrev_i32_e32 v11, 31, v10
	v_mul_f64 v[4:5], v[30:31], v[4:5]
	v_mul_f64 v[6:7], v[30:31], v[6:7]
	v_lshl_add_u64 v[8:9], v[10:11], 4, s[20:21]
	global_store_dwordx4 v[8:9], v[4:7], off
	s_and_saveexec_b64 s[46:47], s[4:5]
	s_cbranch_execz .LBB21_95
; %bb.103:                              ;   in Loop: Header=BB21_96 Depth=2
	s_mov_b32 s49, s48
	v_mov_b32_e32 v40, v39
	v_mov_b32_e32 v41, v24
	;; [unrolled: 1-line block ×3, first 2 shown]
	s_branch .LBB21_105
.LBB21_104:                             ;   in Loop: Header=BB21_105 Depth=3
	s_waitcnt vmcnt(0)
	v_fma_f64 v[12:13], -v[4:5], v[8:9], v[12:13]
	v_fma_f64 v[8:9], -v[6:7], v[8:9], v[14:15]
	v_ashrrev_i32_e32 v33, 31, v32
	s_add_i32 s49, s49, -1
	v_fmac_f64_e32 v[12:13], v[6:7], v[10:11]
	v_fma_f64 v[14:15], -v[4:5], v[10:11], v[8:9]
	v_lshl_add_u64 v[8:9], v[32:33], 4, s[20:21]
	v_add_u32_e32 v42, 1, v42
	v_add_u32_e32 v41, 1, v41
	s_cmp_eq_u32 s49, 0
	v_add_u32_e32 v40, 1, v40
	global_store_dwordx4 v[8:9], v[12:15], off
	s_cbranch_scc1 .LBB21_95
.LBB21_105:                             ;   Parent Loop BB21_80 Depth=1
                                        ;     Parent Loop BB21_96 Depth=2
                                        ; =>    This Inner Loop Header: Depth=3
	v_cndmask_b32_e64 v8, 0, 1, s[12:13]
	v_cmp_ne_u32_e64 s[0:1], 1, v8
	s_andn2_b64 vcc, exec, s[12:13]
	v_add_u32_e32 v33, v42, v21
	v_mov_b32_e32 v8, v41
	s_cbranch_vccnz .LBB21_107
; %bb.106:                              ;   in Loop: Header=BB21_105 Depth=3
	v_mad_u64_u32 v[8:9], s[50:51], v33, s33, v[26:27]
.LBB21_107:                             ;   in Loop: Header=BB21_105 Depth=3
	v_ashrrev_i32_e32 v9, 31, v8
	v_lshl_add_u64 v[8:9], v[8:9], 4, s[20:21]
	global_load_dwordx4 v[8:11], v[8:9], off
	s_and_b64 vcc, exec, s[0:1]
	v_mov_b32_e32 v12, v40
	s_cbranch_vccnz .LBB21_109
; %bb.108:                              ;   in Loop: Header=BB21_105 Depth=3
	v_mad_u64_u32 v[12:13], s[50:51], v33, s33, v[28:29]
.LBB21_109:                             ;   in Loop: Header=BB21_105 Depth=3
	v_ashrrev_i32_e32 v13, 31, v12
	v_lshl_add_u64 v[12:13], v[12:13], 4, s[20:21]
	global_load_dwordx4 v[12:15], v[12:13], off
	s_and_b64 vcc, exec, s[0:1]
	v_mov_b32_e32 v32, v40
	s_cbranch_vccnz .LBB21_104
; %bb.110:                              ;   in Loop: Header=BB21_105 Depth=3
	v_mad_u64_u32 v[32:33], s[0:1], v33, s33, v[28:29]
	s_branch .LBB21_104
.LBB21_111:                             ;   in Loop: Header=BB21_96 Depth=2
                                        ; implicit-def: $vgpr4
	s_branch .LBB21_98
.LBB21_112:                             ;   in Loop: Header=BB21_96 Depth=2
                                        ; implicit-def: $vgpr10
	s_branch .LBB21_101
.LBB21_113:                             ;   in Loop: Header=BB21_80 Depth=1
	s_or_b64 exec, exec, s[42:43]
	s_andn2_b64 s[38:39], s[38:39], exec
.LBB21_114:                             ;   in Loop: Header=BB21_80 Depth=1
	s_or_b64 exec, exec, s[40:41]
	s_andn2_b64 s[0:1], s[24:25], exec
	s_and_b64 s[4:5], s[24:25], exec
	s_or_b64 s[24:25], s[0:1], s[4:5]
	s_and_saveexec_b64 s[0:1], s[38:39]
	s_cbranch_execz .LBB21_79
; %bb.115:                              ;   in Loop: Header=BB21_80 Depth=1
	v_add_u32_e32 v38, 1, v26
	s_or_b64 s[24:25], s[24:25], exec
	s_branch .LBB21_79
.LBB21_116:
	s_or_b64 exec, exec, s[16:17]
	s_andn2_b64 s[0:1], s[6:7], exec
	s_and_b64 s[2:3], s[22:23], exec
	s_or_b64 s[6:7], s[0:1], s[2:3]
.LBB21_117:
	s_or_b64 exec, exec, s[10:11]
	v_add_u32_e32 v14, 1, v20
	v_cmp_lt_i32_e32 vcc, v14, v19
	s_and_saveexec_b64 s[10:11], vcc
	s_cbranch_execz .LBB21_141
; %bb.118:
	v_mul_lo_u32 v15, v20, s33
	v_mul_lo_u32 v0, s33, v15
	s_mul_i32 s23, s33, s33
	v_add_u32_e32 v20, s33, v0
	v_mul_lo_u32 v0, s23, v14
	s_cmp_lg_u32 s36, 0
	v_add3_u32 v21, v0, s33, v18
	v_cndmask_b32_e64 v0, 0, 1, s[8:9]
	v_cmp_gt_i32_e64 s[0:1], s33, v18
	s_cselect_b64 s[12:13], -1, 0
	s_add_i32 s22, s33, 1
	s_add_i32 s24, s33, -1
	s_mov_b64 s[14:15], 0
	v_cmp_ne_u32_e64 s[2:3], 1, v0
	s_branch .LBB21_120
.LBB21_119:                             ;   in Loop: Header=BB21_120 Depth=1
	v_add_u32_e32 v14, 1, v14
	v_cmp_ge_i32_e32 vcc, v14, v19
	s_or_b64 s[14:15], vcc, s[14:15]
	v_add_u32_e32 v21, s23, v21
	s_andn2_b64 exec, exec, s[14:15]
	s_cbranch_execz .LBB21_141
.LBB21_120:                             ; =>This Loop Header: Depth=1
                                        ;     Child Loop BB21_123 Depth 2
                                        ;       Child Loop BB21_126 Depth 3
                                        ;         Child Loop BB21_129 Depth 4
	s_and_b64 vcc, exec, s[2:3]
	s_cbranch_vccnz .LBB21_119
; %bb.121:                              ;   in Loop: Header=BB21_120 Depth=1
	v_mul_lo_u32 v22, v14, s33
	s_mov_b32 s35, 0
	s_mov_b32 s25, s24
	v_mov_b32_e32 v23, v21
	v_mov_b32_e32 v24, v20
	s_branch .LBB21_123
.LBB21_122:                             ;   in Loop: Header=BB21_123 Depth=2
	s_or_b64 exec, exec, s[8:9]
	s_add_i32 s25, s25, -1
	v_add_u32_e32 v24, s22, v24
	v_add_u32_e32 v23, s33, v23
	s_cmp_eq_u32 s36, s33
	s_mov_b32 s35, s36
	s_cbranch_scc1 .LBB21_119
.LBB21_123:                             ;   Parent Loop BB21_120 Depth=1
                                        ; =>  This Loop Header: Depth=2
                                        ;       Child Loop BB21_126 Depth 3
                                        ;         Child Loop BB21_129 Depth 4
	s_add_i32 s36, s35, 1
	s_and_saveexec_b64 s[8:9], s[0:1]
	s_cbranch_execz .LBB21_122
; %bb.124:                              ;   in Loop: Header=BB21_123 Depth=2
	s_cmp_lt_i32 s36, s33
	v_add_u32_e32 v0, s35, v15
	v_mul_lo_u32 v25, v0, s33
	v_add_u32_e32 v0, s35, v22
	s_cselect_b64 s[4:5], -1, 0
	v_mul_lo_u32 v26, v0, s33
	v_cndmask_b32_e64 v0, 0, 1, s[4:5]
	s_mov_b64 s[16:17], 0
	v_cmp_ne_u32_e64 s[4:5], 1, v0
	v_mov_b32_e32 v27, v23
	v_mov_b32_e32 v28, v18
	s_branch .LBB21_126
.LBB21_125:                             ;   in Loop: Header=BB21_126 Depth=3
	v_add_u32_e32 v28, 64, v28
	v_cmp_le_i32_e32 vcc, s33, v28
	s_or_b64 s[16:17], vcc, s[16:17]
	v_add_u32_e32 v27, 64, v27
	s_andn2_b64 exec, exec, s[16:17]
	s_cbranch_execz .LBB21_122
.LBB21_126:                             ;   Parent Loop BB21_120 Depth=1
                                        ;     Parent Loop BB21_123 Depth=2
                                        ; =>    This Loop Header: Depth=3
                                        ;         Child Loop BB21_129 Depth 4
	s_and_b64 vcc, exec, s[4:5]
	s_cbranch_vccnz .LBB21_125
; %bb.127:                              ;   in Loop: Header=BB21_126 Depth=3
	v_add_u32_e32 v0, v28, v22
	v_mul_lo_u32 v29, v0, s33
	v_add_u32_e32 v30, s35, v29
	v_add_u32_e32 v31, v28, v26
	s_mov_b32 s37, 0
	s_mov_b32 s38, s25
	;; [unrolled: 1-line block ×3, first 2 shown]
	s_branch .LBB21_129
.LBB21_128:                             ;   in Loop: Header=BB21_129 Depth=4
	s_waitcnt vmcnt(0)
	v_fma_f64 v[8:9], -v[0:1], v[4:5], v[8:9]
	v_fmac_f64_e32 v[8:9], v[2:3], v[6:7]
	v_fma_f64 v[2:3], -v[2:3], v[4:5], v[10:11]
	v_ashrrev_i32_e32 v13, 31, v12
	s_add_i32 s39, s39, 1
	s_add_i32 s37, s37, s33
	s_add_i32 s38, s38, -1
	v_fma_f64 v[10:11], -v[0:1], v[6:7], v[2:3]
	v_lshl_add_u64 v[0:1], v[12:13], 4, s[20:21]
	s_cmp_eq_u32 s38, 0
	global_store_dwordx4 v[0:1], v[8:11], off
	s_cbranch_scc1 .LBB21_125
.LBB21_129:                             ;   Parent Loop BB21_120 Depth=1
                                        ;     Parent Loop BB21_123 Depth=2
                                        ;       Parent Loop BB21_126 Depth=3
                                        ; =>      This Inner Loop Header: Depth=4
	s_and_b64 vcc, exec, s[12:13]
	s_cbranch_vccz .LBB21_137
; %bb.130:                              ;   in Loop: Header=BB21_129 Depth=4
	v_add_u32_e32 v0, s39, v25
	v_mov_b32_e32 v2, v30
	s_cbranch_execnz .LBB21_132
.LBB21_131:                             ;   in Loop: Header=BB21_129 Depth=4
	v_add_u32_e32 v0, s37, v24
	v_mov_b32_e32 v2, v31
.LBB21_132:                             ;   in Loop: Header=BB21_129 Depth=4
	v_ashrrev_i32_e32 v1, 31, v0
	v_lshl_add_u64 v[8:9], v[0:1], 4, s[20:21]
	v_ashrrev_i32_e32 v3, 31, v2
	v_lshl_add_u64 v[10:11], v[2:3], 4, s[20:21]
	global_load_dwordx4 v[0:3], v[8:9], off
	global_load_dwordx4 v[4:7], v[10:11], off
	s_and_b64 vcc, exec, s[12:13]
	v_add_u32_e32 v12, s39, v29
	s_cbranch_vccz .LBB21_138
; %bb.133:                              ;   in Loop: Header=BB21_129 Depth=4
	v_add_u32_e32 v8, s39, v29
	v_add_u32_e32 v13, s37, v27
	s_cbranch_execnz .LBB21_135
.LBB21_134:                             ;   in Loop: Header=BB21_129 Depth=4
	v_add_u32_e32 v8, s37, v27
.LBB21_135:                             ;   in Loop: Header=BB21_129 Depth=4
	v_ashrrev_i32_e32 v9, 31, v8
	v_lshl_add_u64 v[8:9], v[8:9], 4, s[20:21]
	global_load_dwordx4 v[8:11], v[8:9], off
	s_and_b64 vcc, exec, s[12:13]
	s_cbranch_vccz .LBB21_139
; %bb.136:                              ;   in Loop: Header=BB21_129 Depth=4
	s_cbranch_execnz .LBB21_128
	s_branch .LBB21_140
.LBB21_137:                             ;   in Loop: Header=BB21_129 Depth=4
                                        ; implicit-def: $vgpr0
	v_mov_b32_e32 v2, v30
	s_branch .LBB21_131
.LBB21_138:                             ;   in Loop: Header=BB21_129 Depth=4
                                        ; implicit-def: $vgpr8
	v_add_u32_e32 v13, s37, v27
	s_branch .LBB21_134
.LBB21_139:                             ;   in Loop: Header=BB21_129 Depth=4
                                        ; implicit-def: $vgpr12
.LBB21_140:                             ;   in Loop: Header=BB21_129 Depth=4
	v_mov_b32_e32 v12, v13
	s_branch .LBB21_128
.LBB21_141:
	s_or_b64 exec, exec, s[10:11]
	s_orn2_b64 s[2:3], s[6:7], exec
.LBB21_142:
	s_or_b64 exec, exec, s[30:31]
	v_cmp_eq_u32_e32 vcc, 0, v18
	s_and_b64 exec, exec, vcc
	s_cbranch_execz .LBB21_148
; %bb.143:
	v_lshl_add_u64 v[0:1], v[16:17], 2, s[28:29]
	v_mov_b32_e32 v2, 1
	buffer_wbl2 sc1
	s_waitcnt vmcnt(0)
	global_store_dword v[0:1], v2, off sc1
	s_and_b64 exec, exec, s[2:3]
	s_cbranch_execz .LBB21_148
; %bb.144:
	s_mov_b64 s[0:1], exec
	v_add_u32_e32 v0, s34, v16
	s_brev_b32 s2, -2
.LBB21_145:                             ; =>This Inner Loop Header: Depth=1
	s_ff1_i32_b64 s3, s[0:1]
	v_readlane_b32 s6, v0, s3
	s_lshl_b64 s[4:5], 1, s3
	s_min_i32 s2, s2, s6
	s_andn2_b64 s[0:1], s[0:1], s[4:5]
	s_cmp_lg_u64 s[0:1], 0
	s_cbranch_scc1 .LBB21_145
; %bb.146:
	v_mbcnt_lo_u32_b32 v0, exec_lo, 0
	v_mbcnt_hi_u32_b32 v0, exec_hi, v0
	v_cmp_eq_u32_e32 vcc, 0, v0
	s_and_saveexec_b64 s[0:1], vcc
	s_xor_b64 s[0:1], exec, s[0:1]
	s_cbranch_execz .LBB21_148
; %bb.147:
	v_mov_b32_e32 v0, 0
	v_mov_b32_e32 v1, s2
	global_atomic_smin v0, v1, s[26:27]
.LBB21_148:
	s_endpgm
	.section	.rodata,"a",@progbits
	.p2align	6, 0x0
	.amdhsa_kernel _ZN9rocsparseL15bsrilu0_generalILj128ELj64ELb1E21rocsparse_complex_numIdEEEv20rocsparse_direction_iPKiS5_PT2_S5_iPiS5_S8_21rocsparse_index_base_imNS_24const_host_device_scalarIfEENSA_IdEENSA_IS6_EEb
		.amdhsa_group_segment_fixed_size 0
		.amdhsa_private_segment_fixed_size 48
		.amdhsa_kernarg_size 124
		.amdhsa_user_sgpr_count 2
		.amdhsa_user_sgpr_dispatch_ptr 0
		.amdhsa_user_sgpr_queue_ptr 0
		.amdhsa_user_sgpr_kernarg_segment_ptr 1
		.amdhsa_user_sgpr_dispatch_id 0
		.amdhsa_user_sgpr_kernarg_preload_length 0
		.amdhsa_user_sgpr_kernarg_preload_offset 0
		.amdhsa_user_sgpr_private_segment_size 0
		.amdhsa_uses_dynamic_stack 0
		.amdhsa_enable_private_segment 1
		.amdhsa_system_sgpr_workgroup_id_x 1
		.amdhsa_system_sgpr_workgroup_id_y 0
		.amdhsa_system_sgpr_workgroup_id_z 0
		.amdhsa_system_sgpr_workgroup_info 0
		.amdhsa_system_vgpr_workitem_id 0
		.amdhsa_next_free_vgpr 49
		.amdhsa_next_free_sgpr 68
		.amdhsa_accum_offset 52
		.amdhsa_reserve_vcc 1
		.amdhsa_float_round_mode_32 0
		.amdhsa_float_round_mode_16_64 0
		.amdhsa_float_denorm_mode_32 3
		.amdhsa_float_denorm_mode_16_64 3
		.amdhsa_dx10_clamp 1
		.amdhsa_ieee_mode 1
		.amdhsa_fp16_overflow 0
		.amdhsa_tg_split 0
		.amdhsa_exception_fp_ieee_invalid_op 0
		.amdhsa_exception_fp_denorm_src 0
		.amdhsa_exception_fp_ieee_div_zero 0
		.amdhsa_exception_fp_ieee_overflow 0
		.amdhsa_exception_fp_ieee_underflow 0
		.amdhsa_exception_fp_ieee_inexact 0
		.amdhsa_exception_int_div_zero 0
	.end_amdhsa_kernel
	.section	.text._ZN9rocsparseL15bsrilu0_generalILj128ELj64ELb1E21rocsparse_complex_numIdEEEv20rocsparse_direction_iPKiS5_PT2_S5_iPiS5_S8_21rocsparse_index_base_imNS_24const_host_device_scalarIfEENSA_IdEENSA_IS6_EEb,"axG",@progbits,_ZN9rocsparseL15bsrilu0_generalILj128ELj64ELb1E21rocsparse_complex_numIdEEEv20rocsparse_direction_iPKiS5_PT2_S5_iPiS5_S8_21rocsparse_index_base_imNS_24const_host_device_scalarIfEENSA_IdEENSA_IS6_EEb,comdat
.Lfunc_end21:
	.size	_ZN9rocsparseL15bsrilu0_generalILj128ELj64ELb1E21rocsparse_complex_numIdEEEv20rocsparse_direction_iPKiS5_PT2_S5_iPiS5_S8_21rocsparse_index_base_imNS_24const_host_device_scalarIfEENSA_IdEENSA_IS6_EEb, .Lfunc_end21-_ZN9rocsparseL15bsrilu0_generalILj128ELj64ELb1E21rocsparse_complex_numIdEEEv20rocsparse_direction_iPKiS5_PT2_S5_iPiS5_S8_21rocsparse_index_base_imNS_24const_host_device_scalarIfEENSA_IdEENSA_IS6_EEb
                                        ; -- End function
	.set _ZN9rocsparseL15bsrilu0_generalILj128ELj64ELb1E21rocsparse_complex_numIdEEEv20rocsparse_direction_iPKiS5_PT2_S5_iPiS5_S8_21rocsparse_index_base_imNS_24const_host_device_scalarIfEENSA_IdEENSA_IS6_EEb.num_vgpr, 49
	.set _ZN9rocsparseL15bsrilu0_generalILj128ELj64ELb1E21rocsparse_complex_numIdEEEv20rocsparse_direction_iPKiS5_PT2_S5_iPiS5_S8_21rocsparse_index_base_imNS_24const_host_device_scalarIfEENSA_IdEENSA_IS6_EEb.num_agpr, 0
	.set _ZN9rocsparseL15bsrilu0_generalILj128ELj64ELb1E21rocsparse_complex_numIdEEEv20rocsparse_direction_iPKiS5_PT2_S5_iPiS5_S8_21rocsparse_index_base_imNS_24const_host_device_scalarIfEENSA_IdEENSA_IS6_EEb.numbered_sgpr, 68
	.set _ZN9rocsparseL15bsrilu0_generalILj128ELj64ELb1E21rocsparse_complex_numIdEEEv20rocsparse_direction_iPKiS5_PT2_S5_iPiS5_S8_21rocsparse_index_base_imNS_24const_host_device_scalarIfEENSA_IdEENSA_IS6_EEb.num_named_barrier, 0
	.set _ZN9rocsparseL15bsrilu0_generalILj128ELj64ELb1E21rocsparse_complex_numIdEEEv20rocsparse_direction_iPKiS5_PT2_S5_iPiS5_S8_21rocsparse_index_base_imNS_24const_host_device_scalarIfEENSA_IdEENSA_IS6_EEb.private_seg_size, 48
	.set _ZN9rocsparseL15bsrilu0_generalILj128ELj64ELb1E21rocsparse_complex_numIdEEEv20rocsparse_direction_iPKiS5_PT2_S5_iPiS5_S8_21rocsparse_index_base_imNS_24const_host_device_scalarIfEENSA_IdEENSA_IS6_EEb.uses_vcc, 1
	.set _ZN9rocsparseL15bsrilu0_generalILj128ELj64ELb1E21rocsparse_complex_numIdEEEv20rocsparse_direction_iPKiS5_PT2_S5_iPiS5_S8_21rocsparse_index_base_imNS_24const_host_device_scalarIfEENSA_IdEENSA_IS6_EEb.uses_flat_scratch, 0
	.set _ZN9rocsparseL15bsrilu0_generalILj128ELj64ELb1E21rocsparse_complex_numIdEEEv20rocsparse_direction_iPKiS5_PT2_S5_iPiS5_S8_21rocsparse_index_base_imNS_24const_host_device_scalarIfEENSA_IdEENSA_IS6_EEb.has_dyn_sized_stack, 0
	.set _ZN9rocsparseL15bsrilu0_generalILj128ELj64ELb1E21rocsparse_complex_numIdEEEv20rocsparse_direction_iPKiS5_PT2_S5_iPiS5_S8_21rocsparse_index_base_imNS_24const_host_device_scalarIfEENSA_IdEENSA_IS6_EEb.has_recursion, 0
	.set _ZN9rocsparseL15bsrilu0_generalILj128ELj64ELb1E21rocsparse_complex_numIdEEEv20rocsparse_direction_iPKiS5_PT2_S5_iPiS5_S8_21rocsparse_index_base_imNS_24const_host_device_scalarIfEENSA_IdEENSA_IS6_EEb.has_indirect_call, 0
	.section	.AMDGPU.csdata,"",@progbits
; Kernel info:
; codeLenInByte = 4540
; TotalNumSgprs: 74
; NumVgprs: 49
; NumAgprs: 0
; TotalNumVgprs: 49
; ScratchSize: 48
; MemoryBound: 0
; FloatMode: 240
; IeeeMode: 1
; LDSByteSize: 0 bytes/workgroup (compile time only)
; SGPRBlocks: 9
; VGPRBlocks: 6
; NumSGPRsForWavesPerEU: 74
; NumVGPRsForWavesPerEU: 49
; AccumOffset: 52
; Occupancy: 8
; WaveLimiterHint : 1
; COMPUTE_PGM_RSRC2:SCRATCH_EN: 1
; COMPUTE_PGM_RSRC2:USER_SGPR: 2
; COMPUTE_PGM_RSRC2:TRAP_HANDLER: 0
; COMPUTE_PGM_RSRC2:TGID_X_EN: 1
; COMPUTE_PGM_RSRC2:TGID_Y_EN: 0
; COMPUTE_PGM_RSRC2:TGID_Z_EN: 0
; COMPUTE_PGM_RSRC2:TIDIG_COMP_CNT: 0
; COMPUTE_PGM_RSRC3_GFX90A:ACCUM_OFFSET: 12
; COMPUTE_PGM_RSRC3_GFX90A:TG_SPLIT: 0
	.section	.text._ZN9rocsparseL15bsrilu0_generalILj128ELj32ELb0E21rocsparse_complex_numIdEEEv20rocsparse_direction_iPKiS5_PT2_S5_iPiS5_S8_21rocsparse_index_base_imNS_24const_host_device_scalarIfEENSA_IdEENSA_IS6_EEb,"axG",@progbits,_ZN9rocsparseL15bsrilu0_generalILj128ELj32ELb0E21rocsparse_complex_numIdEEEv20rocsparse_direction_iPKiS5_PT2_S5_iPiS5_S8_21rocsparse_index_base_imNS_24const_host_device_scalarIfEENSA_IdEENSA_IS6_EEb,comdat
	.globl	_ZN9rocsparseL15bsrilu0_generalILj128ELj32ELb0E21rocsparse_complex_numIdEEEv20rocsparse_direction_iPKiS5_PT2_S5_iPiS5_S8_21rocsparse_index_base_imNS_24const_host_device_scalarIfEENSA_IdEENSA_IS6_EEb ; -- Begin function _ZN9rocsparseL15bsrilu0_generalILj128ELj32ELb0E21rocsparse_complex_numIdEEEv20rocsparse_direction_iPKiS5_PT2_S5_iPiS5_S8_21rocsparse_index_base_imNS_24const_host_device_scalarIfEENSA_IdEENSA_IS6_EEb
	.p2align	8
	.type	_ZN9rocsparseL15bsrilu0_generalILj128ELj32ELb0E21rocsparse_complex_numIdEEEv20rocsparse_direction_iPKiS5_PT2_S5_iPiS5_S8_21rocsparse_index_base_imNS_24const_host_device_scalarIfEENSA_IdEENSA_IS6_EEb,@function
_ZN9rocsparseL15bsrilu0_generalILj128ELj32ELb0E21rocsparse_complex_numIdEEEv20rocsparse_direction_iPKiS5_PT2_S5_iPiS5_S8_21rocsparse_index_base_imNS_24const_host_device_scalarIfEENSA_IdEENSA_IS6_EEb: ; @_ZN9rocsparseL15bsrilu0_generalILj128ELj32ELb0E21rocsparse_complex_numIdEEEv20rocsparse_direction_iPKiS5_PT2_S5_iPiS5_S8_21rocsparse_index_base_imNS_24const_host_device_scalarIfEENSA_IdEENSA_IS6_EEb
; %bb.0:
	s_load_dword s3, s[0:1], 0x78
	s_load_dwordx8 s[24:31], s[0:1], 0x50
	s_load_dwordx2 s[4:5], s[0:1], 0x70
	s_load_dwordx2 s[34:35], s[0:1], 0x48
	s_waitcnt lgkmcnt(0)
	s_bitcmp1_b32 s3, 0
	s_cselect_b64 s[6:7], -1, 0
	v_mov_b64_e32 v[2:3], s[30:31]
	s_cmp_eq_u32 s35, 0
	s_cselect_b64 s[14:15], -1, 0
	s_cmp_lg_u32 s35, 0
	s_cselect_b64 s[8:9], -1, 0
	s_or_b64 s[16:17], s[14:15], s[6:7]
	s_xor_b64 s[10:11], s[16:17], -1
	s_and_b64 s[12:13], s[14:15], exec
	s_cselect_b32 s13, 0, s29
	s_cselect_b32 s12, 0, s28
	s_and_b64 vcc, exec, s[16:17]
	scratch_store_dwordx2 off, v[2:3], off offset:32
	s_cbranch_vccnz .LBB22_2
; %bb.1:
	s_load_dword s3, s[26:27], 0x0
	s_mov_b64 s[12:13], s[28:29]
	s_waitcnt lgkmcnt(0)
	v_mov_b32_e32 v33, s3
	s_andn2_b64 vcc, exec, s[10:11]
	v_mov_b64_e32 v[22:23], s[12:13]
	s_cbranch_vccz .LBB22_3
	s_branch .LBB22_4
.LBB22_2:
	v_mov_b32_e32 v1, s26
	v_cndmask_b32_e64 v33, v1, 0, s[14:15]
	s_andn2_b64 vcc, exec, s[10:11]
	v_mov_b64_e32 v[22:23], s[12:13]
	s_cbranch_vccnz .LBB22_4
.LBB22_3:
	v_mov_b64_e32 v[2:3], s[28:29]
	flat_load_dwordx2 v[22:23], v[2:3]
.LBB22_4:
	v_cndmask_b32_e64 v1, 0, 1, s[8:9]
	v_mov_b64_e32 v[2:3], 0
	v_cmp_ne_u32_e64 s[14:15], 1, v1
	s_andn2_b64 vcc, exec, s[8:9]
	v_mov_b64_e32 v[4:5], 0
	s_cbranch_vccnz .LBB22_7
; %bb.5:
	s_xor_b64 s[10:11], s[6:7], -1
	s_mov_b64 s[8:9], src_private_base
	s_and_b64 s[6:7], s[6:7], exec
	s_cselect_b32 s3, s9, s31
	s_cselect_b32 s6, 32, s30
	v_mov_b32_e32 v2, s6
	v_mov_b32_e32 v3, s3
	flat_load_dwordx2 v[2:3], v[2:3]
	s_andn2_b64 vcc, exec, s[10:11]
	v_mov_b64_e32 v[4:5], s[4:5]
	s_cbranch_vccnz .LBB22_7
; %bb.6:
	v_mov_b64_e32 v[4:5], s[30:31]
	flat_load_dwordx2 v[4:5], v[4:5] offset:8
.LBB22_7:
	s_load_dwordx2 s[36:37], s[0:1], 0x0
	s_lshl_b32 s2, s2, 2
	v_lshrrev_b32_e32 v1, 5, v0
	s_and_b32 s2, s2, 0x7fffffc
	v_or_b32_e32 v1, s2, v1
	s_waitcnt lgkmcnt(0)
	v_cmp_gt_i32_e32 vcc, s37, v1
	s_waitcnt vmcnt(0)
	scratch_store_dwordx4 off, v[2:5], off
	s_and_saveexec_b64 s[2:3], vcc
	s_cbranch_execz .LBB22_146
; %bb.8:
	s_load_dwordx4 s[28:31], s[0:1], 0x30
	s_load_dwordx2 s[26:27], s[0:1], 0x40
	v_lshlrev_b32_e32 v1, 2, v1
	s_load_dwordx8 s[16:23], s[0:1], 0x8
	v_and_b32_e32 v18, 31, v0
	s_waitcnt lgkmcnt(0)
	global_load_dword v16, v1, s[30:31]
	s_mov_b64 s[2:3], -1
	s_waitcnt vmcnt(0)
	v_ashrrev_i32_e32 v17, 31, v16
	v_lshl_add_u64 v[2:3], v[16:17], 2, s[22:23]
	global_load_dword v20, v[2:3], off
	s_waitcnt vmcnt(0)
	v_cmp_ne_u32_e32 vcc, -1, v20
	s_and_saveexec_b64 s[30:31], vcc
	s_cbranch_execz .LBB22_140
; %bb.9:
	v_lshl_add_u64 v[0:1], v[16:17], 2, s[16:17]
	global_load_dwordx2 v[0:1], v[0:1], off
	s_load_dword s33, s[0:1], 0x28
	s_mov_b64 s[6:7], 0
	s_waitcnt vmcnt(0)
	v_subrev_u32_e32 v24, s34, v0
	v_subrev_u32_e32 v19, s34, v1
	v_cmp_lt_i32_e32 vcc, v24, v20
	s_and_saveexec_b64 s[38:39], vcc
	s_cbranch_execz .LBB22_75
; %bb.10:
	s_waitcnt lgkmcnt(0)
	s_cmp_gt_i32 s33, 0
	s_cselect_b64 s[0:1], -1, 0
	v_mad_u64_u32 v[0:1], s[8:9], s33, v24, v[18:19]
	v_add_u32_e32 v26, v24, v18
	v_mul_lo_u32 v21, s33, v0
	v_cndmask_b32_e64 v0, 0, 1, s[0:1]
	s_cmp_lg_u32 s36, 0
	v_ashrrev_i32_e32 v27, 31, v26
	v_cmp_ne_u32_e64 s[8:9], 1, v0
	v_mbcnt_lo_u32_b32 v0, -1, 0
	s_cselect_b64 s[40:41], -1, 0
	v_cmp_gt_i32_e64 s[2:3], s33, v18
	v_cmp_le_i32_e64 s[4:5], s33, v18
	v_cmp_lt_i32_e64 s[6:7], v26, v19
	s_add_i32 s35, s37, 1
	v_lshl_add_u64 v[28:29], v[26:27], 2, s[18:19]
	s_mul_i32 s37, s33, s33
	s_add_i32 s60, s33, 1
	v_add_u32_e32 v27, 1, v21
	s_lshl_b32 s61, s33, 5
	s_add_i32 s62, s33, -1
	s_mov_b64 s[48:49], 0
	s_mov_b64 s[42:43], 0
	v_mbcnt_hi_u32_b32 v37, -1, v0
                                        ; implicit-def: $sgpr44_sgpr45
                                        ; implicit-def: $sgpr46_sgpr47
	s_branch .LBB22_13
.LBB22_11:                              ;   in Loop: Header=BB22_13 Depth=1
	s_or_b64 exec, exec, s[0:1]
	s_andn2_b64 s[0:1], s[46:47], exec
	s_and_b64 s[12:13], s[48:49], exec
	s_or_b64 s[46:47], s[0:1], s[12:13]
.LBB22_12:                              ;   in Loop: Header=BB22_13 Depth=1
	s_or_b64 exec, exec, s[50:51]
	v_add_u32_e32 v24, 1, v24
	v_cmp_ge_i32_e32 vcc, v24, v20
	s_xor_b64 s[0:1], s[10:11], -1
	s_or_b64 s[0:1], s[0:1], vcc
	s_and_b64 s[0:1], exec, s[0:1]
	s_or_b64 s[42:43], s[0:1], s[42:43]
	s_andn2_b64 s[0:1], s[44:45], exec
	s_and_b64 s[10:11], s[46:47], exec
	v_add_u32_e32 v27, s37, v27
	v_add_u32_e32 v21, s37, v21
	s_or_b64 s[44:45], s[0:1], s[10:11]
	s_mov_b64 s[48:49], s[46:47]
	s_andn2_b64 exec, exec, s[42:43]
	s_cbranch_execz .LBB22_74
.LBB22_13:                              ; =>This Loop Header: Depth=1
                                        ;     Child Loop BB22_16 Depth 2
                                        ;     Child Loop BB22_21 Depth 2
                                        ;       Child Loop BB22_26 Depth 3
                                        ;         Child Loop BB22_35 Depth 4
                                        ;     Child Loop BB22_48 Depth 2
                                        ;       Child Loop BB22_53 Depth 3
                                        ;       Child Loop BB22_60 Depth 3
                                        ;         Child Loop BB22_62 Depth 4
                                        ;           Child Loop BB22_64 Depth 5
	v_ashrrev_i32_e32 v25, 31, v24
	s_waitcnt lgkmcnt(0)
	v_lshl_add_u64 v[0:1], v[24:25], 2, s[18:19]
	global_load_dword v0, v[0:1], off
	s_or_b64 s[46:47], s[46:47], exec
	s_waitcnt vmcnt(0)
	v_subrev_u32_e32 v0, s34, v0
	v_ashrrev_i32_e32 v1, 31, v0
	v_lshl_add_u64 v[2:3], v[0:1], 2, s[22:23]
	global_load_dword v40, v[2:3], off
	s_waitcnt vmcnt(0)
	v_cmp_ne_u32_e64 s[10:11], -1, v40
	s_and_saveexec_b64 s[50:51], s[10:11]
	s_cbranch_execz .LBB22_12
; %bb.14:                               ;   in Loop: Header=BB22_13 Depth=1
	v_lshlrev_b64 v[0:1], 2, v[0:1]
	v_lshl_add_u64 v[2:3], s[16:17], 0, v[0:1]
	v_lshl_add_u64 v[0:1], s[28:29], 0, v[0:1]
	global_load_dword v41, v[2:3], off offset:4
	s_nop 0
	global_load_dword v2, v[0:1], off sc1
	s_waitcnt vmcnt(0)
	v_cmp_eq_u32_e32 vcc, 0, v2
	s_and_saveexec_b64 s[0:1], vcc
	s_cbranch_execz .LBB22_17
; %bb.15:                               ;   in Loop: Header=BB22_13 Depth=1
	s_mov_b64 s[12:13], 0
.LBB22_16:                              ;   Parent Loop BB22_13 Depth=1
                                        ; =>  This Inner Loop Header: Depth=2
	global_load_dword v2, v[0:1], off sc1
	s_waitcnt vmcnt(0)
	v_cmp_ne_u32_e32 vcc, 0, v2
	s_or_b64 s[12:13], vcc, s[12:13]
	s_andn2_b64 exec, exec, s[12:13]
	s_cbranch_execnz .LBB22_16
.LBB22_17:                              ;   in Loop: Header=BB22_13 Depth=1
	s_or_b64 exec, exec, s[0:1]
	s_and_b64 vcc, exec, s[8:9]
	v_mul_lo_u32 v25, v24, s33
	buffer_inv sc1
	s_cbranch_vccnz .LBB22_44
; %bb.18:                               ;   in Loop: Header=BB22_13 Depth=1
	v_mad_u64_u32 v[30:31], s[0:1], s37, v40, 1
	v_mul_lo_u32 v42, v40, s33
	v_mov_b32_e32 v32, 0
	s_mov_b64 s[52:53], 0
	s_mov_b32 s63, s62
	v_mov_b32_e32 v31, v27
	s_branch .LBB22_21
.LBB22_19:                              ;   in Loop: Header=BB22_21 Depth=2
	s_or_b64 exec, exec, s[56:57]
	v_mov_b32_e32 v32, v43
.LBB22_20:                              ;   in Loop: Header=BB22_21 Depth=2
	s_or_b64 exec, exec, s[54:55]
	s_add_i32 s63, s63, -1
	v_cmp_eq_u32_e32 vcc, s33, v32
	v_add_u32_e32 v30, s60, v30
	s_or_b64 s[52:53], vcc, s[52:53]
	v_add_u32_e32 v31, 1, v31
	s_andn2_b64 exec, exec, s[52:53]
	s_cbranch_execz .LBB22_43
.LBB22_21:                              ;   Parent Loop BB22_13 Depth=1
                                        ; =>  This Loop Header: Depth=2
                                        ;       Child Loop BB22_26 Depth 3
                                        ;         Child Loop BB22_35 Depth 4
	v_add_u32_e32 v43, 1, v32
	s_and_saveexec_b64 s[0:1], s[4:5]
	s_xor_b64 s[0:1], exec, s[0:1]
; %bb.22:                               ;   in Loop: Header=BB22_21 Depth=2
	v_add_u32_e32 v32, 1, v32
                                        ; implicit-def: $vgpr43
; %bb.23:                               ;   in Loop: Header=BB22_21 Depth=2
	s_andn2_saveexec_b64 s[54:55], s[0:1]
	s_cbranch_execz .LBB22_20
; %bb.24:                               ;   in Loop: Header=BB22_21 Depth=2
	v_add_u32_e32 v0, v32, v42
	v_mad_u64_u32 v[0:1], s[0:1], v0, s33, v[32:33]
	v_ashrrev_i32_e32 v1, 31, v0
	v_lshl_add_u64 v[0:1], v[0:1], 4, s[20:21]
	global_load_dwordx4 v[0:3], v[0:1], off
	v_add_u32_e32 v10, v32, v25
	v_mul_lo_u32 v45, v10, s33
	v_cmp_gt_i32_e64 s[12:13], s33, v43
	s_mov_b64 s[56:57], 0
	v_mov_b32_e32 v44, v31
	v_mov_b32_e32 v36, v18
	s_waitcnt vmcnt(0)
	v_mul_f64 v[4:5], v[2:3], v[2:3]
	v_fmac_f64_e32 v[4:5], v[0:1], v[0:1]
	v_div_scale_f64 v[6:7], s[0:1], v[4:5], v[4:5], 1.0
	v_rcp_f64_e32 v[8:9], v[6:7]
	v_div_scale_f64 v[10:11], vcc, 1.0, v[4:5], 1.0
	v_fma_f64 v[12:13], -v[6:7], v[8:9], 1.0
	v_fmac_f64_e32 v[8:9], v[8:9], v[12:13]
	v_fma_f64 v[12:13], -v[6:7], v[8:9], 1.0
	v_fmac_f64_e32 v[8:9], v[8:9], v[12:13]
	v_mul_f64 v[12:13], v[10:11], v[8:9]
	v_fma_f64 v[6:7], -v[6:7], v[12:13], v[10:11]
	v_div_fmas_f64 v[6:7], v[6:7], v[8:9], v[12:13]
	v_div_fixup_f64 v[34:35], v[6:7], v[4:5], 1.0
	s_branch .LBB22_26
.LBB22_25:                              ;   in Loop: Header=BB22_26 Depth=3
	s_or_b64 exec, exec, s[58:59]
	v_add_u32_e32 v36, 32, v36
	v_cmp_le_i32_e32 vcc, s33, v36
	s_or_b64 s[56:57], vcc, s[56:57]
	v_add_u32_e32 v44, s61, v44
	s_andn2_b64 exec, exec, s[56:57]
	s_cbranch_execz .LBB22_19
.LBB22_26:                              ;   Parent Loop BB22_13 Depth=1
                                        ;     Parent Loop BB22_21 Depth=2
                                        ; =>    This Loop Header: Depth=3
                                        ;         Child Loop BB22_35 Depth 4
	s_and_b64 vcc, exec, s[40:41]
	v_add_u32_e32 v10, v36, v45
	s_cbranch_vccz .LBB22_41
; %bb.27:                               ;   in Loop: Header=BB22_26 Depth=3
	v_add_u32_e32 v4, v36, v45
	v_add_u32_e32 v11, v36, v25
	s_cbranch_execnz .LBB22_29
.LBB22_28:                              ;   in Loop: Header=BB22_26 Depth=3
	v_mad_u64_u32 v[4:5], s[0:1], v11, s33, v[32:33]
.LBB22_29:                              ;   in Loop: Header=BB22_26 Depth=3
	v_ashrrev_i32_e32 v5, 31, v4
	v_lshl_add_u64 v[4:5], v[4:5], 4, s[20:21]
	global_load_dwordx4 v[6:9], v[4:5], off
	s_and_b64 vcc, exec, s[40:41]
	s_cbranch_vccz .LBB22_42
; %bb.30:                               ;   in Loop: Header=BB22_26 Depth=3
	s_cbranch_execnz .LBB22_32
.LBB22_31:                              ;   in Loop: Header=BB22_26 Depth=3
	v_mad_u64_u32 v[10:11], s[0:1], v11, s33, v[32:33]
.LBB22_32:                              ;   in Loop: Header=BB22_26 Depth=3
	s_waitcnt vmcnt(0)
	v_mul_f64 v[4:5], v[2:3], v[8:9]
	v_fmac_f64_e32 v[4:5], v[6:7], v[0:1]
	v_mul_f64 v[6:7], v[2:3], -v[6:7]
	v_fmac_f64_e32 v[6:7], v[8:9], v[0:1]
	v_ashrrev_i32_e32 v11, 31, v10
	v_mul_f64 v[4:5], v[34:35], v[4:5]
	v_mul_f64 v[6:7], v[34:35], v[6:7]
	v_lshl_add_u64 v[8:9], v[10:11], 4, s[20:21]
	global_store_dwordx4 v[8:9], v[4:7], off
	s_and_saveexec_b64 s[58:59], s[12:13]
	s_cbranch_execz .LBB22_25
; %bb.33:                               ;   in Loop: Header=BB22_26 Depth=3
	s_mov_b32 s64, s63
	v_mov_b32_e32 v46, v44
	v_mov_b32_e32 v47, v30
	;; [unrolled: 1-line block ×3, first 2 shown]
	s_branch .LBB22_35
.LBB22_34:                              ;   in Loop: Header=BB22_35 Depth=4
	s_waitcnt vmcnt(0)
	v_fma_f64 v[12:13], -v[4:5], v[8:9], v[12:13]
	v_fma_f64 v[8:9], -v[6:7], v[8:9], v[14:15]
	v_ashrrev_i32_e32 v39, 31, v38
	s_add_i32 s64, s64, -1
	v_fmac_f64_e32 v[12:13], v[6:7], v[10:11]
	v_fma_f64 v[14:15], -v[4:5], v[10:11], v[8:9]
	v_lshl_add_u64 v[8:9], v[38:39], 4, s[20:21]
	v_add_u32_e32 v48, 1, v48
	v_add_u32_e32 v47, 1, v47
	s_cmp_eq_u32 s64, 0
	v_add_u32_e32 v46, 1, v46
	global_store_dwordx4 v[8:9], v[12:15], off
	s_cbranch_scc1 .LBB22_25
.LBB22_35:                              ;   Parent Loop BB22_13 Depth=1
                                        ;     Parent Loop BB22_21 Depth=2
                                        ;       Parent Loop BB22_26 Depth=3
                                        ; =>      This Inner Loop Header: Depth=4
	v_cndmask_b32_e64 v8, 0, 1, s[40:41]
	v_cmp_ne_u32_e64 s[0:1], 1, v8
	s_andn2_b64 vcc, exec, s[40:41]
	v_mov_b32_e32 v8, v47
	s_cbranch_vccnz .LBB22_37
; %bb.36:                               ;   in Loop: Header=BB22_35 Depth=4
	v_add_u32_e32 v8, v48, v42
	v_mad_u64_u32 v[8:9], s[66:67], v8, s33, v[32:33]
.LBB22_37:                              ;   in Loop: Header=BB22_35 Depth=4
	v_ashrrev_i32_e32 v9, 31, v8
	v_lshl_add_u64 v[8:9], v[8:9], 4, s[20:21]
	global_load_dwordx4 v[8:11], v[8:9], off
	s_and_b64 vcc, exec, s[0:1]
	v_add_u32_e32 v39, v48, v25
	v_mov_b32_e32 v12, v46
	s_cbranch_vccnz .LBB22_39
; %bb.38:                               ;   in Loop: Header=BB22_35 Depth=4
	v_mad_u64_u32 v[12:13], s[66:67], v39, s33, v[36:37]
.LBB22_39:                              ;   in Loop: Header=BB22_35 Depth=4
	v_ashrrev_i32_e32 v13, 31, v12
	v_lshl_add_u64 v[12:13], v[12:13], 4, s[20:21]
	global_load_dwordx4 v[12:15], v[12:13], off
	s_and_b64 vcc, exec, s[0:1]
	v_mov_b32_e32 v38, v46
	s_cbranch_vccnz .LBB22_34
; %bb.40:                               ;   in Loop: Header=BB22_35 Depth=4
	v_mad_u64_u32 v[38:39], s[0:1], v39, s33, v[36:37]
	s_branch .LBB22_34
.LBB22_41:                              ;   in Loop: Header=BB22_26 Depth=3
                                        ; implicit-def: $vgpr4
	v_add_u32_e32 v11, v36, v25
	s_branch .LBB22_28
.LBB22_42:                              ;   in Loop: Header=BB22_26 Depth=3
                                        ; implicit-def: $vgpr10
	s_branch .LBB22_31
.LBB22_43:                              ;   in Loop: Header=BB22_13 Depth=1
	s_or_b64 exec, exec, s[52:53]
.LBB22_44:                              ;   in Loop: Header=BB22_13 Depth=1
	v_subrev_u32_e32 v7, s34, v41
	v_add_u32_e32 v4, 1, v40
	v_cmp_lt_i32_e32 vcc, v4, v7
	s_and_saveexec_b64 s[0:1], vcc
	s_cbranch_execz .LBB22_11
; %bb.45:                               ;   in Loop: Header=BB22_13 Depth=1
	v_mul_lo_u32 v14, s37, v4
	s_mov_b64 s[12:13], 0
	s_branch .LBB22_48
.LBB22_46:                              ;   in Loop: Header=BB22_48 Depth=2
	s_or_b64 exec, exec, s[52:53]
.LBB22_47:                              ;   in Loop: Header=BB22_48 Depth=2
	v_add_u32_e32 v4, 1, v4
	v_cmp_ge_i32_e32 vcc, v4, v7
	s_or_b64 s[12:13], vcc, s[12:13]
	v_add_u32_e32 v14, s37, v14
	s_andn2_b64 exec, exec, s[12:13]
	s_cbranch_execz .LBB22_11
.LBB22_48:                              ;   Parent Loop BB22_13 Depth=1
                                        ; =>  This Loop Header: Depth=2
                                        ;       Child Loop BB22_53 Depth 3
                                        ;       Child Loop BB22_60 Depth 3
                                        ;         Child Loop BB22_62 Depth 4
                                        ;           Child Loop BB22_64 Depth 5
	v_ashrrev_i32_e32 v5, 31, v4
	s_waitcnt lgkmcnt(0)
	v_lshl_add_u64 v[0:1], v[4:5], 2, s[18:19]
	global_load_dword v0, v[0:1], off
	v_mov_b32_e32 v1, s35
	s_and_saveexec_b64 s[52:53], s[6:7]
	s_cbranch_execz .LBB22_50
; %bb.49:                               ;   in Loop: Header=BB22_48 Depth=2
	global_load_dword v1, v[28:29], off
	s_waitcnt vmcnt(0)
	v_subrev_u32_e32 v1, s34, v1
.LBB22_50:                              ;   in Loop: Header=BB22_48 Depth=2
	s_or_b64 exec, exec, s[52:53]
	s_waitcnt vmcnt(0)
	v_subrev_u32_e32 v2, s34, v0
	v_cmp_lt_i32_e32 vcc, v1, v2
	v_mov_b32_e32 v3, v26
	s_and_saveexec_b64 s[52:53], vcc
	s_cbranch_execz .LBB22_56
; %bb.51:                               ;   in Loop: Header=BB22_48 Depth=2
	s_mov_b64 s[54:55], 0
	v_mov_b32_e32 v0, v26
	s_branch .LBB22_53
.LBB22_52:                              ;   in Loop: Header=BB22_53 Depth=3
	s_or_b64 exec, exec, s[56:57]
	v_cmp_ge_i32_e32 vcc, v1, v2
	s_or_b64 s[54:55], vcc, s[54:55]
	v_mov_b32_e32 v0, v3
	s_andn2_b64 exec, exec, s[54:55]
	s_cbranch_execz .LBB22_55
.LBB22_53:                              ;   Parent Loop BB22_13 Depth=1
                                        ;     Parent Loop BB22_48 Depth=2
                                        ; =>    This Inner Loop Header: Depth=3
	v_add_u32_e32 v3, 32, v0
	v_cmp_lt_i32_e32 vcc, v3, v19
	v_mov_b32_e32 v1, s35
	s_and_saveexec_b64 s[56:57], vcc
	s_cbranch_execz .LBB22_52
; %bb.54:                               ;   in Loop: Header=BB22_53 Depth=3
	v_ashrrev_i32_e32 v1, 31, v0
	v_lshl_add_u64 v[0:1], v[0:1], 2, s[18:19]
	global_load_dword v0, v[0:1], off offset:128
	s_waitcnt vmcnt(0)
	v_subrev_u32_e32 v1, s34, v0
	s_branch .LBB22_52
.LBB22_55:                              ;   in Loop: Header=BB22_48 Depth=2
	s_or_b64 exec, exec, s[54:55]
.LBB22_56:                              ;   in Loop: Header=BB22_48 Depth=2
	s_or_b64 exec, exec, s[52:53]
	v_cmp_eq_u32_e32 vcc, v1, v2
	s_cbranch_vccz .LBB22_47
; %bb.57:                               ;   in Loop: Header=BB22_48 Depth=2
	s_ff1_i32_b64 s52, vcc
	v_and_or_b32 v0, v37, 64, s52
	v_lshlrev_b32_e32 v0, 2, v0
	ds_bpermute_b32 v0, v0, v3
	s_and_saveexec_b64 s[52:53], s[2:3]
	s_cbranch_execz .LBB22_46
; %bb.58:                               ;   in Loop: Header=BB22_48 Depth=2
	v_mul_lo_u32 v5, v4, s33
	s_waitcnt lgkmcnt(0)
	v_mul_lo_u32 v15, v0, s33
	s_mov_b64 s[54:55], 0
	v_mov_b32_e32 v30, v21
	v_mov_b32_e32 v6, v18
	s_branch .LBB22_60
.LBB22_59:                              ;   in Loop: Header=BB22_60 Depth=3
	v_add_u32_e32 v6, 32, v6
	v_cmp_le_i32_e32 vcc, s33, v6
	s_or_b64 s[54:55], vcc, s[54:55]
	v_add_u32_e32 v30, s61, v30
	s_andn2_b64 exec, exec, s[54:55]
	s_cbranch_execz .LBB22_46
.LBB22_60:                              ;   Parent Loop BB22_13 Depth=1
                                        ;     Parent Loop BB22_48 Depth=2
                                        ; =>    This Loop Header: Depth=3
                                        ;         Child Loop BB22_62 Depth 4
                                        ;           Child Loop BB22_64 Depth 5
	v_add_u32_e32 v0, v6, v15
	v_mul_lo_u32 v31, v0, s33
	s_mov_b32 s58, 0
	v_mov_b32_e32 v32, v14
	s_branch .LBB22_62
.LBB22_61:                              ;   in Loop: Header=BB22_62 Depth=4
	v_ashrrev_i32_e32 v1, 31, v0
	v_lshl_add_u64 v[12:13], v[0:1], 4, s[20:21]
	global_load_dwordx4 v[0:3], v[12:13], off
	s_add_i32 s58, s58, 1
	s_cmp_eq_u32 s58, s33
	v_add_u32_e32 v32, 1, v32
	s_waitcnt vmcnt(0)
	v_add_f64 v[0:1], v[0:1], -v[8:9]
	v_add_f64 v[2:3], v[2:3], -v[10:11]
	global_store_dwordx4 v[12:13], v[0:3], off
	s_cbranch_scc1 .LBB22_59
.LBB22_62:                              ;   Parent Loop BB22_13 Depth=1
                                        ;     Parent Loop BB22_48 Depth=2
                                        ;       Parent Loop BB22_60 Depth=3
                                        ; =>      This Loop Header: Depth=4
                                        ;           Child Loop BB22_64 Depth 5
	s_nop 0
	v_add_u32_e32 v0, s58, v5
	v_mul_lo_u32 v34, v0, s33
	v_mov_b64_e32 v[8:9], 0
	v_mov_b32_e32 v35, v32
	s_mov_b32 s59, 0
	v_mov_b64_e32 v[10:11], 0
	s_branch .LBB22_64
.LBB22_63:                              ;   in Loop: Header=BB22_64 Depth=5
	v_ashrrev_i32_e32 v13, 31, v12
	v_lshl_add_u64 v[12:13], v[12:13], 4, s[20:21]
	global_load_dwordx4 v[38:41], v[12:13], off
	s_add_i32 s59, s59, 1
	s_cmp_eq_u32 s33, s59
	v_add_u32_e32 v35, s33, v35
	s_waitcnt vmcnt(0)
	v_fmac_f64_e32 v[8:9], v[0:1], v[38:39]
	v_fmac_f64_e32 v[10:11], v[2:3], v[38:39]
	v_fma_f64 v[8:9], -v[2:3], v[40:41], v[8:9]
	v_fmac_f64_e32 v[10:11], v[0:1], v[40:41]
	s_cbranch_scc1 .LBB22_70
.LBB22_64:                              ;   Parent Loop BB22_13 Depth=1
                                        ;     Parent Loop BB22_48 Depth=2
                                        ;       Parent Loop BB22_60 Depth=3
                                        ;         Parent Loop BB22_62 Depth=4
                                        ; =>        This Inner Loop Header: Depth=5
	s_and_b64 vcc, exec, s[40:41]
	s_cbranch_vccz .LBB22_69
; %bb.65:                               ;   in Loop: Header=BB22_64 Depth=5
	v_add_u32_e32 v0, s59, v25
	v_mad_u64_u32 v[0:1], s[56:57], v0, s33, v[6:7]
	s_cbranch_execnz .LBB22_67
.LBB22_66:                              ;   in Loop: Header=BB22_64 Depth=5
	v_add_u32_e32 v0, s59, v30
.LBB22_67:                              ;   in Loop: Header=BB22_64 Depth=5
	v_ashrrev_i32_e32 v1, 31, v0
	v_lshl_add_u64 v[0:1], v[0:1], 4, s[20:21]
	global_load_dwordx4 v[0:3], v[0:1], off
	s_andn2_b64 vcc, exec, s[40:41]
	v_mov_b32_e32 v12, v35
	s_cbranch_vccnz .LBB22_63
; %bb.68:                               ;   in Loop: Header=BB22_64 Depth=5
	v_add_u32_e32 v12, s59, v34
	s_branch .LBB22_63
.LBB22_69:                              ;   in Loop: Header=BB22_64 Depth=5
                                        ; implicit-def: $vgpr0
	s_branch .LBB22_66
.LBB22_70:                              ;   in Loop: Header=BB22_62 Depth=4
	s_and_b64 vcc, exec, s[40:41]
	s_cbranch_vccz .LBB22_72
; %bb.71:                               ;   in Loop: Header=BB22_62 Depth=4
	v_add_u32_e32 v0, s58, v15
	v_mad_u64_u32 v[0:1], s[56:57], v0, s33, v[6:7]
	s_cbranch_execnz .LBB22_61
	s_branch .LBB22_73
.LBB22_72:                              ;   in Loop: Header=BB22_62 Depth=4
                                        ; implicit-def: $vgpr0
.LBB22_73:                              ;   in Loop: Header=BB22_62 Depth=4
	v_add_u32_e32 v0, s58, v31
	s_branch .LBB22_61
.LBB22_74:
	s_or_b64 exec, exec, s[42:43]
	s_and_b64 s[6:7], s[44:45], exec
.LBB22_75:
	s_or_b64 exec, exec, s[38:39]
	v_ashrrev_i32_e32 v21, 31, v20
	s_waitcnt lgkmcnt(0)
	v_lshl_add_u64 v[0:1], v[20:21], 2, s[18:19]
	global_load_dword v0, v[0:1], off
	s_cmp_gt_i32 s33, 0
	s_cselect_b64 s[8:9], -1, 0
	s_waitcnt vmcnt(0)
	v_subrev_u32_e32 v0, s34, v0
	v_cmp_eq_u32_e32 vcc, v0, v16
	s_and_b64 s[0:1], s[8:9], vcc
	s_and_saveexec_b64 s[10:11], s[0:1]
	s_cbranch_execz .LBB22_115
; %bb.76:
	s_cmp_eq_u64 s[24:25], 8
	v_cvt_f64_f32_e32 v[0:1], v33
	s_cselect_b64 vcc, -1, 0
	v_mul_lo_u32 v21, v20, s33
	v_cndmask_b32_e32 v22, v0, v22, vcc
	s_cmp_lg_u32 s36, 0
	s_mul_i32 s0, s33, s33
	v_add_u32_e32 v0, v21, v18
	s_cselect_b64 s[12:13], -1, 0
	v_mad_u64_u32 v[24:25], s[0:1], v20, s0, 1
	s_add_i32 s35, s33, 1
	v_mul_lo_u32 v0, s33, v0
	s_mov_b32 s18, 0
	v_cndmask_b32_e32 v23, v1, v23, vcc
	v_cmp_eq_u32_e64 s[2:3], 0, v18
	v_add_u32_e32 v25, s35, v0
	s_lshl_b32 s37, s33, 5
	s_add_i32 s48, s33, -1
	v_mov_b32_e32 v26, 0
	s_mov_b64 s[16:17], 0
	s_brev_b32 s19, 8
	v_mov_b32_e32 v27, 0x260
	v_mov_b32_e32 v29, 0x100
	;; [unrolled: 1-line block ×5, first 2 shown]
	s_mov_b64 s[24:25], s[6:7]
                                        ; implicit-def: $sgpr22_sgpr23
	s_branch .LBB22_78
.LBB22_77:                              ;   in Loop: Header=BB22_78 Depth=1
	s_or_b64 exec, exec, s[0:1]
	s_add_i32 s48, s48, -1
	v_cmp_eq_u32_e32 vcc, s33, v38
	s_or_b64 s[16:17], vcc, s[16:17]
	s_andn2_b64 s[0:1], s[22:23], exec
	s_and_b64 s[4:5], s[24:25], exec
	v_add_u32_e32 v24, s35, v24
	v_add_u32_e32 v25, s35, v25
	s_or_b64 s[22:23], s[0:1], s[4:5]
	v_mov_b32_e32 v26, v38
	s_andn2_b64 exec, exec, s[16:17]
	s_cbranch_execz .LBB22_114
.LBB22_78:                              ; =>This Loop Header: Depth=1
                                        ;     Child Loop BB22_94 Depth 2
                                        ;       Child Loop BB22_103 Depth 3
	v_add_u32_e32 v0, v26, v21
	v_mul_lo_u32 v37, v0, s33
	v_add_u32_e32 v0, v37, v26
	v_ashrrev_i32_e32 v1, 31, v0
	v_lshl_add_u64 v[4:5], v[0:1], 4, s[20:21]
	global_load_dwordx4 v[0:3], v[4:5], off
	s_mov_b64 s[0:1], -1
	s_and_b64 vcc, exec, s[14:15]
	s_mov_b64 s[4:5], 0
	s_waitcnt vmcnt(0)
	scratch_store_dwordx4 off, v[0:3], off offset:16
	s_cbranch_vccz .LBB22_81
; %bb.79:                               ;   in Loop: Header=BB22_78 Depth=1
	s_mov_b64 s[38:39], 0
	s_and_b64 vcc, exec, s[0:1]
	s_cbranch_vccnz .LBB22_90
.LBB22_80:                              ;   in Loop: Header=BB22_78 Depth=1
                                        ; implicit-def: $vgpr38
	s_and_saveexec_b64 s[0:1], s[4:5]
	s_xor_b64 s[40:41], exec, s[0:1]
	s_cbranch_execnz .LBB22_91
	s_branch .LBB22_112
.LBB22_81:                              ;   in Loop: Header=BB22_78 Depth=1
	v_xor_b32_e32 v6, 0x80000000, v1
	v_cmp_gt_f64_e32 vcc, 0, v[0:1]
	v_xor_b32_e32 v8, 0x80000000, v3
                                        ; implicit-def: $vgpr10_vgpr11
	s_nop 0
	v_cndmask_b32_e32 v7, v1, v6, vcc
	v_cmp_gt_f64_e32 vcc, 0, v[2:3]
	v_mov_b32_e32 v6, v0
	s_nop 0
	v_cndmask_b32_e32 v9, v3, v8, vcc
	v_mov_b32_e32 v8, v2
	v_cmp_ngt_f64_e32 vcc, v[6:7], v[8:9]
	s_and_saveexec_b64 s[0:1], vcc
	s_xor_b64 s[0:1], exec, s[0:1]
	s_cbranch_execz .LBB22_85
; %bb.82:                               ;   in Loop: Header=BB22_78 Depth=1
	v_mov_b64_e32 v[10:11], 0
	v_cmp_neq_f64_e32 vcc, 0, v[2:3]
	s_and_saveexec_b64 s[4:5], vcc
	s_cbranch_execz .LBB22_84
; %bb.83:                               ;   in Loop: Header=BB22_78 Depth=1
	v_div_scale_f64 v[10:11], s[38:39], v[8:9], v[8:9], v[6:7]
	v_rcp_f64_e32 v[12:13], v[10:11]
	v_div_scale_f64 v[14:15], vcc, v[6:7], v[8:9], v[6:7]
	v_fma_f64 v[30:31], -v[10:11], v[12:13], 1.0
	v_fmac_f64_e32 v[12:13], v[12:13], v[30:31]
	v_fma_f64 v[30:31], -v[10:11], v[12:13], 1.0
	v_fmac_f64_e32 v[12:13], v[12:13], v[30:31]
	v_mul_f64 v[30:31], v[14:15], v[12:13]
	v_fma_f64 v[10:11], -v[10:11], v[30:31], v[14:15]
	v_div_fmas_f64 v[10:11], v[10:11], v[12:13], v[30:31]
	v_div_fixup_f64 v[6:7], v[10:11], v[8:9], v[6:7]
	v_fma_f64 v[6:7], v[6:7], v[6:7], 1.0
	v_cmp_gt_f64_e32 vcc, s[18:19], v[6:7]
	s_nop 1
	v_cndmask_b32_e32 v10, 0, v29, vcc
	v_ldexp_f64 v[6:7], v[6:7], v10
	v_rsq_f64_e32 v[10:11], v[6:7]
	s_nop 0
	v_mul_f64 v[12:13], v[6:7], v[10:11]
	v_mul_f64 v[10:11], v[10:11], 0.5
	v_fma_f64 v[14:15], -v[10:11], v[12:13], 0.5
	v_fmac_f64_e32 v[12:13], v[12:13], v[14:15]
	v_fma_f64 v[30:31], -v[12:13], v[12:13], v[6:7]
	v_fmac_f64_e32 v[10:11], v[10:11], v[14:15]
	v_fmac_f64_e32 v[12:13], v[30:31], v[10:11]
	v_fma_f64 v[14:15], -v[12:13], v[12:13], v[6:7]
	v_fmac_f64_e32 v[12:13], v[14:15], v[10:11]
	v_cndmask_b32_e32 v10, 0, v34, vcc
	v_ldexp_f64 v[10:11], v[12:13], v10
	v_cmp_class_f64_e32 vcc, v[6:7], v27
	s_nop 1
	v_cndmask_b32_e32 v7, v11, v7, vcc
	v_cndmask_b32_e32 v6, v10, v6, vcc
	v_mul_f64 v[10:11], v[8:9], v[6:7]
.LBB22_84:                              ;   in Loop: Header=BB22_78 Depth=1
	s_or_b64 exec, exec, s[4:5]
                                        ; implicit-def: $vgpr6_vgpr7
                                        ; implicit-def: $vgpr8_vgpr9
.LBB22_85:                              ;   in Loop: Header=BB22_78 Depth=1
	s_andn2_saveexec_b64 s[0:1], s[0:1]
	s_cbranch_execz .LBB22_87
; %bb.86:                               ;   in Loop: Header=BB22_78 Depth=1
	v_div_scale_f64 v[10:11], s[4:5], v[6:7], v[6:7], v[8:9]
	v_rcp_f64_e32 v[12:13], v[10:11]
	v_div_scale_f64 v[14:15], vcc, v[8:9], v[6:7], v[8:9]
	v_fma_f64 v[30:31], -v[10:11], v[12:13], 1.0
	v_fmac_f64_e32 v[12:13], v[12:13], v[30:31]
	v_fma_f64 v[30:31], -v[10:11], v[12:13], 1.0
	v_fmac_f64_e32 v[12:13], v[12:13], v[30:31]
	v_mul_f64 v[30:31], v[14:15], v[12:13]
	v_fma_f64 v[10:11], -v[10:11], v[30:31], v[14:15]
	v_div_fmas_f64 v[10:11], v[10:11], v[12:13], v[30:31]
	v_div_fixup_f64 v[8:9], v[10:11], v[6:7], v[8:9]
	v_fma_f64 v[8:9], v[8:9], v[8:9], 1.0
	v_cmp_gt_f64_e32 vcc, s[18:19], v[8:9]
	s_nop 1
	v_cndmask_b32_e32 v10, 0, v29, vcc
	v_ldexp_f64 v[8:9], v[8:9], v10
	v_rsq_f64_e32 v[10:11], v[8:9]
	s_nop 0
	v_mul_f64 v[12:13], v[8:9], v[10:11]
	v_mul_f64 v[10:11], v[10:11], 0.5
	v_fma_f64 v[14:15], -v[10:11], v[12:13], 0.5
	v_fmac_f64_e32 v[12:13], v[12:13], v[14:15]
	v_fma_f64 v[30:31], -v[12:13], v[12:13], v[8:9]
	v_fmac_f64_e32 v[10:11], v[10:11], v[14:15]
	v_fmac_f64_e32 v[12:13], v[30:31], v[10:11]
	v_fma_f64 v[14:15], -v[12:13], v[12:13], v[8:9]
	v_fmac_f64_e32 v[12:13], v[14:15], v[10:11]
	v_cndmask_b32_e32 v10, 0, v34, vcc
	v_ldexp_f64 v[10:11], v[12:13], v10
	v_cmp_class_f64_e32 vcc, v[8:9], v27
	s_nop 1
	v_cndmask_b32_e32 v9, v11, v9, vcc
	v_cndmask_b32_e32 v8, v10, v8, vcc
	v_mul_f64 v[10:11], v[6:7], v[8:9]
.LBB22_87:                              ;   in Loop: Header=BB22_78 Depth=1
	s_or_b64 exec, exec, s[0:1]
	v_cmp_ge_f64_e32 vcc, v[22:23], v[10:11]
	s_nop 1
	v_cndmask_b32_e32 v6, v35, v36, vcc
	scratch_load_dwordx4 v[8:11], v6, off
	s_waitcnt vmcnt(0)
	scratch_store_dwordx4 off, v[8:11], off offset:16
	s_and_saveexec_b64 s[0:1], s[2:3]
	s_cbranch_execz .LBB22_89
; %bb.88:                               ;   in Loop: Header=BB22_78 Depth=1
	scratch_load_dwordx4 v[6:9], v6, off
	s_waitcnt vmcnt(0)
	global_store_dwordx4 v[4:5], v[6:9], off
.LBB22_89:                              ;   in Loop: Header=BB22_78 Depth=1
	s_or_b64 exec, exec, s[0:1]
	s_mov_b64 s[4:5], -1
	s_mov_b64 s[38:39], 0
	s_branch .LBB22_80
.LBB22_90:                              ;   in Loop: Header=BB22_78 Depth=1
	v_cmp_neq_f64_e32 vcc, 0, v[0:1]
	v_cmp_neq_f64_e64 s[0:1], 0, v[2:3]
	s_or_b64 s[0:1], vcc, s[0:1]
	s_andn2_b64 s[4:5], s[4:5], exec
	s_and_b64 s[0:1], s[0:1], exec
	s_mov_b64 s[38:39], -1
	s_or_b64 s[4:5], s[4:5], s[0:1]
                                        ; implicit-def: $vgpr38
	s_and_saveexec_b64 s[0:1], s[4:5]
	s_xor_b64 s[40:41], exec, s[0:1]
	s_cbranch_execz .LBB22_112
.LBB22_91:                              ;   in Loop: Header=BB22_78 Depth=1
	v_add_u32_e32 v38, 1, v26
	v_add_u32_e32 v28, v38, v18
	v_cmp_gt_i32_e32 vcc, s33, v28
	s_and_saveexec_b64 s[42:43], vcc
	s_cbranch_execz .LBB22_111
; %bb.92:                               ;   in Loop: Header=BB22_78 Depth=1
	scratch_load_dwordx4 v[0:3], off, off offset:16
	v_cmp_gt_i32_e64 s[4:5], s33, v38
	s_mov_b64 s[44:45], 0
	v_mov_b32_e32 v39, v25
	s_waitcnt vmcnt(0)
	v_mul_f64 v[4:5], v[2:3], v[2:3]
	v_fmac_f64_e32 v[4:5], v[0:1], v[0:1]
	v_div_scale_f64 v[6:7], s[0:1], v[4:5], v[4:5], 1.0
	v_rcp_f64_e32 v[8:9], v[6:7]
	v_div_scale_f64 v[10:11], vcc, 1.0, v[4:5], 1.0
	v_fma_f64 v[12:13], -v[6:7], v[8:9], 1.0
	v_fmac_f64_e32 v[8:9], v[8:9], v[12:13]
	v_fma_f64 v[12:13], -v[6:7], v[8:9], 1.0
	v_fmac_f64_e32 v[8:9], v[8:9], v[12:13]
	v_mul_f64 v[12:13], v[10:11], v[8:9]
	v_fma_f64 v[6:7], -v[6:7], v[12:13], v[10:11]
	v_div_fmas_f64 v[6:7], v[6:7], v[8:9], v[12:13]
	v_div_fixup_f64 v[30:31], v[6:7], v[4:5], 1.0
	s_branch .LBB22_94
.LBB22_93:                              ;   in Loop: Header=BB22_94 Depth=2
	s_or_b64 exec, exec, s[46:47]
	v_add_u32_e32 v28, 32, v28
	v_cmp_le_i32_e32 vcc, s33, v28
	s_or_b64 s[44:45], vcc, s[44:45]
	v_add_u32_e32 v39, s37, v39
	s_andn2_b64 exec, exec, s[44:45]
	s_cbranch_execz .LBB22_111
.LBB22_94:                              ;   Parent Loop BB22_78 Depth=1
                                        ; =>  This Loop Header: Depth=2
                                        ;       Child Loop BB22_103 Depth 3
	s_and_b64 vcc, exec, s[12:13]
	v_add_u32_e32 v10, v28, v37
	s_cbranch_vccz .LBB22_109
; %bb.95:                               ;   in Loop: Header=BB22_94 Depth=2
	v_add_u32_e32 v4, v28, v37
	s_cbranch_execnz .LBB22_97
.LBB22_96:                              ;   in Loop: Header=BB22_94 Depth=2
	v_add_u32_e32 v4, v28, v21
	v_mad_u64_u32 v[4:5], s[0:1], v4, s33, v[26:27]
.LBB22_97:                              ;   in Loop: Header=BB22_94 Depth=2
	v_ashrrev_i32_e32 v5, 31, v4
	v_lshl_add_u64 v[4:5], v[4:5], 4, s[20:21]
	global_load_dwordx4 v[6:9], v[4:5], off
	s_and_b64 vcc, exec, s[12:13]
	s_cbranch_vccz .LBB22_110
; %bb.98:                               ;   in Loop: Header=BB22_94 Depth=2
	s_cbranch_execnz .LBB22_100
.LBB22_99:                              ;   in Loop: Header=BB22_94 Depth=2
	v_add_u32_e32 v4, v28, v21
	v_mad_u64_u32 v[10:11], s[0:1], v4, s33, v[26:27]
.LBB22_100:                             ;   in Loop: Header=BB22_94 Depth=2
	s_waitcnt vmcnt(0)
	v_mul_f64 v[4:5], v[2:3], v[8:9]
	v_fmac_f64_e32 v[4:5], v[6:7], v[0:1]
	v_mul_f64 v[6:7], v[2:3], -v[6:7]
	v_fmac_f64_e32 v[6:7], v[8:9], v[0:1]
	v_ashrrev_i32_e32 v11, 31, v10
	v_mul_f64 v[4:5], v[30:31], v[4:5]
	v_mul_f64 v[6:7], v[30:31], v[6:7]
	v_lshl_add_u64 v[8:9], v[10:11], 4, s[20:21]
	global_store_dwordx4 v[8:9], v[4:7], off
	s_and_saveexec_b64 s[46:47], s[4:5]
	s_cbranch_execz .LBB22_93
; %bb.101:                              ;   in Loop: Header=BB22_94 Depth=2
	s_mov_b32 s49, s48
	v_mov_b32_e32 v40, v39
	v_mov_b32_e32 v41, v24
	;; [unrolled: 1-line block ×3, first 2 shown]
	s_branch .LBB22_103
.LBB22_102:                             ;   in Loop: Header=BB22_103 Depth=3
	s_waitcnt vmcnt(0)
	v_fma_f64 v[12:13], -v[4:5], v[8:9], v[12:13]
	v_fma_f64 v[8:9], -v[6:7], v[8:9], v[14:15]
	v_ashrrev_i32_e32 v33, 31, v32
	s_add_i32 s49, s49, -1
	v_fmac_f64_e32 v[12:13], v[6:7], v[10:11]
	v_fma_f64 v[14:15], -v[4:5], v[10:11], v[8:9]
	v_lshl_add_u64 v[8:9], v[32:33], 4, s[20:21]
	v_add_u32_e32 v42, 1, v42
	v_add_u32_e32 v41, 1, v41
	s_cmp_eq_u32 s49, 0
	v_add_u32_e32 v40, 1, v40
	global_store_dwordx4 v[8:9], v[12:15], off
	s_cbranch_scc1 .LBB22_93
.LBB22_103:                             ;   Parent Loop BB22_78 Depth=1
                                        ;     Parent Loop BB22_94 Depth=2
                                        ; =>    This Inner Loop Header: Depth=3
	v_cndmask_b32_e64 v8, 0, 1, s[12:13]
	v_cmp_ne_u32_e64 s[0:1], 1, v8
	s_andn2_b64 vcc, exec, s[12:13]
	v_add_u32_e32 v33, v42, v21
	v_mov_b32_e32 v8, v41
	s_cbranch_vccnz .LBB22_105
; %bb.104:                              ;   in Loop: Header=BB22_103 Depth=3
	v_mad_u64_u32 v[8:9], s[50:51], v33, s33, v[26:27]
.LBB22_105:                             ;   in Loop: Header=BB22_103 Depth=3
	v_ashrrev_i32_e32 v9, 31, v8
	v_lshl_add_u64 v[8:9], v[8:9], 4, s[20:21]
	global_load_dwordx4 v[8:11], v[8:9], off
	s_and_b64 vcc, exec, s[0:1]
	v_mov_b32_e32 v12, v40
	s_cbranch_vccnz .LBB22_107
; %bb.106:                              ;   in Loop: Header=BB22_103 Depth=3
	v_mad_u64_u32 v[12:13], s[50:51], v33, s33, v[28:29]
.LBB22_107:                             ;   in Loop: Header=BB22_103 Depth=3
	v_ashrrev_i32_e32 v13, 31, v12
	v_lshl_add_u64 v[12:13], v[12:13], 4, s[20:21]
	global_load_dwordx4 v[12:15], v[12:13], off
	s_and_b64 vcc, exec, s[0:1]
	v_mov_b32_e32 v32, v40
	s_cbranch_vccnz .LBB22_102
; %bb.108:                              ;   in Loop: Header=BB22_103 Depth=3
	v_mad_u64_u32 v[32:33], s[0:1], v33, s33, v[28:29]
	s_branch .LBB22_102
.LBB22_109:                             ;   in Loop: Header=BB22_94 Depth=2
                                        ; implicit-def: $vgpr4
	s_branch .LBB22_96
.LBB22_110:                             ;   in Loop: Header=BB22_94 Depth=2
                                        ; implicit-def: $vgpr10
	s_branch .LBB22_99
.LBB22_111:                             ;   in Loop: Header=BB22_78 Depth=1
	s_or_b64 exec, exec, s[42:43]
	s_andn2_b64 s[38:39], s[38:39], exec
.LBB22_112:                             ;   in Loop: Header=BB22_78 Depth=1
	s_or_b64 exec, exec, s[40:41]
	s_andn2_b64 s[0:1], s[24:25], exec
	s_and_b64 s[4:5], s[24:25], exec
	s_or_b64 s[24:25], s[0:1], s[4:5]
	s_and_saveexec_b64 s[0:1], s[38:39]
	s_cbranch_execz .LBB22_77
; %bb.113:                              ;   in Loop: Header=BB22_78 Depth=1
	v_add_u32_e32 v38, 1, v26
	s_or_b64 s[24:25], s[24:25], exec
	s_branch .LBB22_77
.LBB22_114:
	s_or_b64 exec, exec, s[16:17]
	s_andn2_b64 s[0:1], s[6:7], exec
	s_and_b64 s[2:3], s[22:23], exec
	s_or_b64 s[6:7], s[0:1], s[2:3]
.LBB22_115:
	s_or_b64 exec, exec, s[10:11]
	v_add_u32_e32 v14, 1, v20
	v_cmp_lt_i32_e32 vcc, v14, v19
	s_and_saveexec_b64 s[10:11], vcc
	s_cbranch_execz .LBB22_139
; %bb.116:
	v_mul_lo_u32 v15, v20, s33
	v_mul_lo_u32 v0, s33, v15
	s_mul_i32 s23, s33, s33
	v_add_u32_e32 v20, s33, v0
	v_mul_lo_u32 v0, s23, v14
	s_cmp_lg_u32 s36, 0
	v_add3_u32 v21, v0, s33, v18
	v_cndmask_b32_e64 v0, 0, 1, s[8:9]
	v_cmp_gt_i32_e64 s[0:1], s33, v18
	s_cselect_b64 s[12:13], -1, 0
	s_add_i32 s22, s33, 1
	s_add_i32 s24, s33, -1
	s_mov_b64 s[14:15], 0
	v_cmp_ne_u32_e64 s[2:3], 1, v0
	s_branch .LBB22_118
.LBB22_117:                             ;   in Loop: Header=BB22_118 Depth=1
	v_add_u32_e32 v14, 1, v14
	v_cmp_ge_i32_e32 vcc, v14, v19
	s_or_b64 s[14:15], vcc, s[14:15]
	v_add_u32_e32 v21, s23, v21
	s_andn2_b64 exec, exec, s[14:15]
	s_cbranch_execz .LBB22_139
.LBB22_118:                             ; =>This Loop Header: Depth=1
                                        ;     Child Loop BB22_121 Depth 2
                                        ;       Child Loop BB22_124 Depth 3
                                        ;         Child Loop BB22_127 Depth 4
	s_and_b64 vcc, exec, s[2:3]
	s_cbranch_vccnz .LBB22_117
; %bb.119:                              ;   in Loop: Header=BB22_118 Depth=1
	v_mul_lo_u32 v22, v14, s33
	s_mov_b32 s35, 0
	s_mov_b32 s25, s24
	v_mov_b32_e32 v23, v21
	v_mov_b32_e32 v24, v20
	s_branch .LBB22_121
.LBB22_120:                             ;   in Loop: Header=BB22_121 Depth=2
	s_or_b64 exec, exec, s[8:9]
	s_add_i32 s25, s25, -1
	v_add_u32_e32 v24, s22, v24
	v_add_u32_e32 v23, s33, v23
	s_cmp_eq_u32 s36, s33
	s_mov_b32 s35, s36
	s_cbranch_scc1 .LBB22_117
.LBB22_121:                             ;   Parent Loop BB22_118 Depth=1
                                        ; =>  This Loop Header: Depth=2
                                        ;       Child Loop BB22_124 Depth 3
                                        ;         Child Loop BB22_127 Depth 4
	s_add_i32 s36, s35, 1
	s_and_saveexec_b64 s[8:9], s[0:1]
	s_cbranch_execz .LBB22_120
; %bb.122:                              ;   in Loop: Header=BB22_121 Depth=2
	s_cmp_lt_i32 s36, s33
	v_add_u32_e32 v0, s35, v15
	v_mul_lo_u32 v25, v0, s33
	v_add_u32_e32 v0, s35, v22
	s_cselect_b64 s[4:5], -1, 0
	v_mul_lo_u32 v26, v0, s33
	v_cndmask_b32_e64 v0, 0, 1, s[4:5]
	s_mov_b64 s[16:17], 0
	v_cmp_ne_u32_e64 s[4:5], 1, v0
	v_mov_b32_e32 v27, v23
	v_mov_b32_e32 v28, v18
	s_branch .LBB22_124
.LBB22_123:                             ;   in Loop: Header=BB22_124 Depth=3
	v_add_u32_e32 v28, 32, v28
	v_cmp_le_i32_e32 vcc, s33, v28
	s_or_b64 s[16:17], vcc, s[16:17]
	v_add_u32_e32 v27, 32, v27
	s_andn2_b64 exec, exec, s[16:17]
	s_cbranch_execz .LBB22_120
.LBB22_124:                             ;   Parent Loop BB22_118 Depth=1
                                        ;     Parent Loop BB22_121 Depth=2
                                        ; =>    This Loop Header: Depth=3
                                        ;         Child Loop BB22_127 Depth 4
	s_and_b64 vcc, exec, s[4:5]
	s_cbranch_vccnz .LBB22_123
; %bb.125:                              ;   in Loop: Header=BB22_124 Depth=3
	v_add_u32_e32 v0, v28, v22
	v_mul_lo_u32 v29, v0, s33
	v_add_u32_e32 v30, s35, v29
	v_add_u32_e32 v31, v28, v26
	s_mov_b32 s37, 0
	s_mov_b32 s38, s25
	;; [unrolled: 1-line block ×3, first 2 shown]
	s_branch .LBB22_127
.LBB22_126:                             ;   in Loop: Header=BB22_127 Depth=4
	s_waitcnt vmcnt(0)
	v_fma_f64 v[8:9], -v[0:1], v[4:5], v[8:9]
	v_fmac_f64_e32 v[8:9], v[2:3], v[6:7]
	v_fma_f64 v[2:3], -v[2:3], v[4:5], v[10:11]
	v_ashrrev_i32_e32 v13, 31, v12
	s_add_i32 s39, s39, 1
	s_add_i32 s37, s37, s33
	s_add_i32 s38, s38, -1
	v_fma_f64 v[10:11], -v[0:1], v[6:7], v[2:3]
	v_lshl_add_u64 v[0:1], v[12:13], 4, s[20:21]
	s_cmp_eq_u32 s38, 0
	global_store_dwordx4 v[0:1], v[8:11], off
	s_cbranch_scc1 .LBB22_123
.LBB22_127:                             ;   Parent Loop BB22_118 Depth=1
                                        ;     Parent Loop BB22_121 Depth=2
                                        ;       Parent Loop BB22_124 Depth=3
                                        ; =>      This Inner Loop Header: Depth=4
	s_and_b64 vcc, exec, s[12:13]
	s_cbranch_vccz .LBB22_135
; %bb.128:                              ;   in Loop: Header=BB22_127 Depth=4
	v_add_u32_e32 v0, s39, v25
	v_mov_b32_e32 v2, v30
	s_cbranch_execnz .LBB22_130
.LBB22_129:                             ;   in Loop: Header=BB22_127 Depth=4
	v_add_u32_e32 v0, s37, v24
	v_mov_b32_e32 v2, v31
.LBB22_130:                             ;   in Loop: Header=BB22_127 Depth=4
	v_ashrrev_i32_e32 v1, 31, v0
	v_lshl_add_u64 v[8:9], v[0:1], 4, s[20:21]
	v_ashrrev_i32_e32 v3, 31, v2
	v_lshl_add_u64 v[10:11], v[2:3], 4, s[20:21]
	global_load_dwordx4 v[0:3], v[8:9], off
	global_load_dwordx4 v[4:7], v[10:11], off
	s_and_b64 vcc, exec, s[12:13]
	v_add_u32_e32 v12, s39, v29
	s_cbranch_vccz .LBB22_136
; %bb.131:                              ;   in Loop: Header=BB22_127 Depth=4
	v_add_u32_e32 v8, s39, v29
	v_add_u32_e32 v13, s37, v27
	s_cbranch_execnz .LBB22_133
.LBB22_132:                             ;   in Loop: Header=BB22_127 Depth=4
	v_add_u32_e32 v8, s37, v27
.LBB22_133:                             ;   in Loop: Header=BB22_127 Depth=4
	v_ashrrev_i32_e32 v9, 31, v8
	v_lshl_add_u64 v[8:9], v[8:9], 4, s[20:21]
	global_load_dwordx4 v[8:11], v[8:9], off
	s_and_b64 vcc, exec, s[12:13]
	s_cbranch_vccz .LBB22_137
; %bb.134:                              ;   in Loop: Header=BB22_127 Depth=4
	s_cbranch_execnz .LBB22_126
	s_branch .LBB22_138
.LBB22_135:                             ;   in Loop: Header=BB22_127 Depth=4
                                        ; implicit-def: $vgpr0
	v_mov_b32_e32 v2, v30
	s_branch .LBB22_129
.LBB22_136:                             ;   in Loop: Header=BB22_127 Depth=4
                                        ; implicit-def: $vgpr8
	v_add_u32_e32 v13, s37, v27
	s_branch .LBB22_132
.LBB22_137:                             ;   in Loop: Header=BB22_127 Depth=4
                                        ; implicit-def: $vgpr12
.LBB22_138:                             ;   in Loop: Header=BB22_127 Depth=4
	v_mov_b32_e32 v12, v13
	s_branch .LBB22_126
.LBB22_139:
	s_or_b64 exec, exec, s[10:11]
	s_orn2_b64 s[2:3], s[6:7], exec
.LBB22_140:
	s_or_b64 exec, exec, s[30:31]
	v_cmp_eq_u32_e32 vcc, 0, v18
	s_and_b64 exec, exec, vcc
	s_cbranch_execz .LBB22_146
; %bb.141:
	v_lshl_add_u64 v[0:1], v[16:17], 2, s[28:29]
	v_mov_b32_e32 v2, 1
	buffer_wbl2 sc1
	s_waitcnt vmcnt(0)
	global_store_dword v[0:1], v2, off sc1
	s_and_b64 exec, exec, s[2:3]
	s_cbranch_execz .LBB22_146
; %bb.142:
	s_mov_b64 s[0:1], exec
	v_add_u32_e32 v0, s34, v16
	s_brev_b32 s2, -2
.LBB22_143:                             ; =>This Inner Loop Header: Depth=1
	s_ff1_i32_b64 s3, s[0:1]
	v_readlane_b32 s6, v0, s3
	s_lshl_b64 s[4:5], 1, s3
	s_min_i32 s2, s2, s6
	s_andn2_b64 s[0:1], s[0:1], s[4:5]
	s_cmp_lg_u64 s[0:1], 0
	s_cbranch_scc1 .LBB22_143
; %bb.144:
	v_mbcnt_lo_u32_b32 v0, exec_lo, 0
	v_mbcnt_hi_u32_b32 v0, exec_hi, v0
	v_cmp_eq_u32_e32 vcc, 0, v0
	s_and_saveexec_b64 s[0:1], vcc
	s_xor_b64 s[0:1], exec, s[0:1]
	s_cbranch_execz .LBB22_146
; %bb.145:
	v_mov_b32_e32 v0, 0
	v_mov_b32_e32 v1, s2
	global_atomic_smin v0, v1, s[26:27]
.LBB22_146:
	s_endpgm
	.section	.rodata,"a",@progbits
	.p2align	6, 0x0
	.amdhsa_kernel _ZN9rocsparseL15bsrilu0_generalILj128ELj32ELb0E21rocsparse_complex_numIdEEEv20rocsparse_direction_iPKiS5_PT2_S5_iPiS5_S8_21rocsparse_index_base_imNS_24const_host_device_scalarIfEENSA_IdEENSA_IS6_EEb
		.amdhsa_group_segment_fixed_size 0
		.amdhsa_private_segment_fixed_size 48
		.amdhsa_kernarg_size 124
		.amdhsa_user_sgpr_count 2
		.amdhsa_user_sgpr_dispatch_ptr 0
		.amdhsa_user_sgpr_queue_ptr 0
		.amdhsa_user_sgpr_kernarg_segment_ptr 1
		.amdhsa_user_sgpr_dispatch_id 0
		.amdhsa_user_sgpr_kernarg_preload_length 0
		.amdhsa_user_sgpr_kernarg_preload_offset 0
		.amdhsa_user_sgpr_private_segment_size 0
		.amdhsa_uses_dynamic_stack 0
		.amdhsa_enable_private_segment 1
		.amdhsa_system_sgpr_workgroup_id_x 1
		.amdhsa_system_sgpr_workgroup_id_y 0
		.amdhsa_system_sgpr_workgroup_id_z 0
		.amdhsa_system_sgpr_workgroup_info 0
		.amdhsa_system_vgpr_workitem_id 0
		.amdhsa_next_free_vgpr 49
		.amdhsa_next_free_sgpr 68
		.amdhsa_accum_offset 52
		.amdhsa_reserve_vcc 1
		.amdhsa_float_round_mode_32 0
		.amdhsa_float_round_mode_16_64 0
		.amdhsa_float_denorm_mode_32 3
		.amdhsa_float_denorm_mode_16_64 3
		.amdhsa_dx10_clamp 1
		.amdhsa_ieee_mode 1
		.amdhsa_fp16_overflow 0
		.amdhsa_tg_split 0
		.amdhsa_exception_fp_ieee_invalid_op 0
		.amdhsa_exception_fp_denorm_src 0
		.amdhsa_exception_fp_ieee_div_zero 0
		.amdhsa_exception_fp_ieee_overflow 0
		.amdhsa_exception_fp_ieee_underflow 0
		.amdhsa_exception_fp_ieee_inexact 0
		.amdhsa_exception_int_div_zero 0
	.end_amdhsa_kernel
	.section	.text._ZN9rocsparseL15bsrilu0_generalILj128ELj32ELb0E21rocsparse_complex_numIdEEEv20rocsparse_direction_iPKiS5_PT2_S5_iPiS5_S8_21rocsparse_index_base_imNS_24const_host_device_scalarIfEENSA_IdEENSA_IS6_EEb,"axG",@progbits,_ZN9rocsparseL15bsrilu0_generalILj128ELj32ELb0E21rocsparse_complex_numIdEEEv20rocsparse_direction_iPKiS5_PT2_S5_iPiS5_S8_21rocsparse_index_base_imNS_24const_host_device_scalarIfEENSA_IdEENSA_IS6_EEb,comdat
.Lfunc_end22:
	.size	_ZN9rocsparseL15bsrilu0_generalILj128ELj32ELb0E21rocsparse_complex_numIdEEEv20rocsparse_direction_iPKiS5_PT2_S5_iPiS5_S8_21rocsparse_index_base_imNS_24const_host_device_scalarIfEENSA_IdEENSA_IS6_EEb, .Lfunc_end22-_ZN9rocsparseL15bsrilu0_generalILj128ELj32ELb0E21rocsparse_complex_numIdEEEv20rocsparse_direction_iPKiS5_PT2_S5_iPiS5_S8_21rocsparse_index_base_imNS_24const_host_device_scalarIfEENSA_IdEENSA_IS6_EEb
                                        ; -- End function
	.set _ZN9rocsparseL15bsrilu0_generalILj128ELj32ELb0E21rocsparse_complex_numIdEEEv20rocsparse_direction_iPKiS5_PT2_S5_iPiS5_S8_21rocsparse_index_base_imNS_24const_host_device_scalarIfEENSA_IdEENSA_IS6_EEb.num_vgpr, 49
	.set _ZN9rocsparseL15bsrilu0_generalILj128ELj32ELb0E21rocsparse_complex_numIdEEEv20rocsparse_direction_iPKiS5_PT2_S5_iPiS5_S8_21rocsparse_index_base_imNS_24const_host_device_scalarIfEENSA_IdEENSA_IS6_EEb.num_agpr, 0
	.set _ZN9rocsparseL15bsrilu0_generalILj128ELj32ELb0E21rocsparse_complex_numIdEEEv20rocsparse_direction_iPKiS5_PT2_S5_iPiS5_S8_21rocsparse_index_base_imNS_24const_host_device_scalarIfEENSA_IdEENSA_IS6_EEb.numbered_sgpr, 68
	.set _ZN9rocsparseL15bsrilu0_generalILj128ELj32ELb0E21rocsparse_complex_numIdEEEv20rocsparse_direction_iPKiS5_PT2_S5_iPiS5_S8_21rocsparse_index_base_imNS_24const_host_device_scalarIfEENSA_IdEENSA_IS6_EEb.num_named_barrier, 0
	.set _ZN9rocsparseL15bsrilu0_generalILj128ELj32ELb0E21rocsparse_complex_numIdEEEv20rocsparse_direction_iPKiS5_PT2_S5_iPiS5_S8_21rocsparse_index_base_imNS_24const_host_device_scalarIfEENSA_IdEENSA_IS6_EEb.private_seg_size, 48
	.set _ZN9rocsparseL15bsrilu0_generalILj128ELj32ELb0E21rocsparse_complex_numIdEEEv20rocsparse_direction_iPKiS5_PT2_S5_iPiS5_S8_21rocsparse_index_base_imNS_24const_host_device_scalarIfEENSA_IdEENSA_IS6_EEb.uses_vcc, 1
	.set _ZN9rocsparseL15bsrilu0_generalILj128ELj32ELb0E21rocsparse_complex_numIdEEEv20rocsparse_direction_iPKiS5_PT2_S5_iPiS5_S8_21rocsparse_index_base_imNS_24const_host_device_scalarIfEENSA_IdEENSA_IS6_EEb.uses_flat_scratch, 0
	.set _ZN9rocsparseL15bsrilu0_generalILj128ELj32ELb0E21rocsparse_complex_numIdEEEv20rocsparse_direction_iPKiS5_PT2_S5_iPiS5_S8_21rocsparse_index_base_imNS_24const_host_device_scalarIfEENSA_IdEENSA_IS6_EEb.has_dyn_sized_stack, 0
	.set _ZN9rocsparseL15bsrilu0_generalILj128ELj32ELb0E21rocsparse_complex_numIdEEEv20rocsparse_direction_iPKiS5_PT2_S5_iPiS5_S8_21rocsparse_index_base_imNS_24const_host_device_scalarIfEENSA_IdEENSA_IS6_EEb.has_recursion, 0
	.set _ZN9rocsparseL15bsrilu0_generalILj128ELj32ELb0E21rocsparse_complex_numIdEEEv20rocsparse_direction_iPKiS5_PT2_S5_iPiS5_S8_21rocsparse_index_base_imNS_24const_host_device_scalarIfEENSA_IdEENSA_IS6_EEb.has_indirect_call, 0
	.section	.AMDGPU.csdata,"",@progbits
; Kernel info:
; codeLenInByte = 4484
; TotalNumSgprs: 74
; NumVgprs: 49
; NumAgprs: 0
; TotalNumVgprs: 49
; ScratchSize: 48
; MemoryBound: 0
; FloatMode: 240
; IeeeMode: 1
; LDSByteSize: 0 bytes/workgroup (compile time only)
; SGPRBlocks: 9
; VGPRBlocks: 6
; NumSGPRsForWavesPerEU: 74
; NumVGPRsForWavesPerEU: 49
; AccumOffset: 52
; Occupancy: 8
; WaveLimiterHint : 1
; COMPUTE_PGM_RSRC2:SCRATCH_EN: 1
; COMPUTE_PGM_RSRC2:USER_SGPR: 2
; COMPUTE_PGM_RSRC2:TRAP_HANDLER: 0
; COMPUTE_PGM_RSRC2:TGID_X_EN: 1
; COMPUTE_PGM_RSRC2:TGID_Y_EN: 0
; COMPUTE_PGM_RSRC2:TGID_Z_EN: 0
; COMPUTE_PGM_RSRC2:TIDIG_COMP_CNT: 0
; COMPUTE_PGM_RSRC3_GFX90A:ACCUM_OFFSET: 12
; COMPUTE_PGM_RSRC3_GFX90A:TG_SPLIT: 0
	.section	.text._ZN9rocsparseL11bsrilu0_2_8ILj64ELj64ELj8E21rocsparse_complex_numIdEEEv20rocsparse_direction_iPKiS5_PT2_S5_iPiS5_S8_21rocsparse_index_base_imNS_24const_host_device_scalarIfEENSA_IdEENSA_IS6_EEb,"axG",@progbits,_ZN9rocsparseL11bsrilu0_2_8ILj64ELj64ELj8E21rocsparse_complex_numIdEEEv20rocsparse_direction_iPKiS5_PT2_S5_iPiS5_S8_21rocsparse_index_base_imNS_24const_host_device_scalarIfEENSA_IdEENSA_IS6_EEb,comdat
	.globl	_ZN9rocsparseL11bsrilu0_2_8ILj64ELj64ELj8E21rocsparse_complex_numIdEEEv20rocsparse_direction_iPKiS5_PT2_S5_iPiS5_S8_21rocsparse_index_base_imNS_24const_host_device_scalarIfEENSA_IdEENSA_IS6_EEb ; -- Begin function _ZN9rocsparseL11bsrilu0_2_8ILj64ELj64ELj8E21rocsparse_complex_numIdEEEv20rocsparse_direction_iPKiS5_PT2_S5_iPiS5_S8_21rocsparse_index_base_imNS_24const_host_device_scalarIfEENSA_IdEENSA_IS6_EEb
	.p2align	8
	.type	_ZN9rocsparseL11bsrilu0_2_8ILj64ELj64ELj8E21rocsparse_complex_numIdEEEv20rocsparse_direction_iPKiS5_PT2_S5_iPiS5_S8_21rocsparse_index_base_imNS_24const_host_device_scalarIfEENSA_IdEENSA_IS6_EEb,@function
_ZN9rocsparseL11bsrilu0_2_8ILj64ELj64ELj8E21rocsparse_complex_numIdEEEv20rocsparse_direction_iPKiS5_PT2_S5_iPiS5_S8_21rocsparse_index_base_imNS_24const_host_device_scalarIfEENSA_IdEENSA_IS6_EEb: ; @_ZN9rocsparseL11bsrilu0_2_8ILj64ELj64ELj8E21rocsparse_complex_numIdEEEv20rocsparse_direction_iPKiS5_PT2_S5_iPiS5_S8_21rocsparse_index_base_imNS_24const_host_device_scalarIfEENSA_IdEENSA_IS6_EEb
; %bb.0:
	s_load_dword s3, s[0:1], 0x78
	s_load_dwordx8 s[24:31], s[0:1], 0x50
	s_load_dwordx2 s[4:5], s[0:1], 0x70
	s_load_dwordx2 s[34:35], s[0:1], 0x48
	s_waitcnt lgkmcnt(0)
	s_bitcmp1_b32 s3, 0
	s_cselect_b64 s[6:7], -1, 0
	v_mov_b64_e32 v[2:3], s[30:31]
	s_cmp_eq_u32 s35, 0
	s_cselect_b64 s[14:15], -1, 0
	s_cmp_lg_u32 s35, 0
	s_cselect_b64 s[8:9], -1, 0
	s_or_b64 s[16:17], s[14:15], s[6:7]
	s_xor_b64 s[10:11], s[16:17], -1
	s_and_b64 s[12:13], s[14:15], exec
	s_cselect_b32 s13, 0, s29
	s_cselect_b32 s12, 0, s28
	s_and_b64 vcc, exec, s[16:17]
	scratch_store_dwordx2 off, v[2:3], off offset:32
	s_cbranch_vccnz .LBB23_2
; %bb.1:
	s_load_dword s3, s[26:27], 0x0
	s_mov_b64 s[12:13], s[28:29]
	s_waitcnt lgkmcnt(0)
	v_mov_b32_e32 v9, s3
	s_andn2_b64 vcc, exec, s[10:11]
	v_mov_b64_e32 v[6:7], s[12:13]
	s_cbranch_vccz .LBB23_3
	s_branch .LBB23_4
.LBB23_2:
	v_mov_b32_e32 v1, s26
	v_cndmask_b32_e64 v9, v1, 0, s[14:15]
	s_andn2_b64 vcc, exec, s[10:11]
	v_mov_b64_e32 v[6:7], s[12:13]
	s_cbranch_vccnz .LBB23_4
.LBB23_3:
	v_mov_b64_e32 v[2:3], s[28:29]
	flat_load_dwordx2 v[6:7], v[2:3]
.LBB23_4:
	v_cndmask_b32_e64 v1, 0, 1, s[8:9]
	v_mov_b64_e32 v[2:3], 0
	v_cmp_ne_u32_e64 s[14:15], 1, v1
	s_andn2_b64 vcc, exec, s[8:9]
	v_mov_b64_e32 v[4:5], 0
	s_cbranch_vccnz .LBB23_7
; %bb.5:
	s_xor_b64 s[10:11], s[6:7], -1
	s_mov_b64 s[8:9], src_private_base
	s_and_b64 s[6:7], s[6:7], exec
	s_cselect_b32 s3, s9, s31
	s_cselect_b32 s6, 32, s30
	v_mov_b32_e32 v2, s6
	v_mov_b32_e32 v3, s3
	flat_load_dwordx2 v[2:3], v[2:3]
	s_andn2_b64 vcc, exec, s[10:11]
	v_mov_b64_e32 v[4:5], s[4:5]
	s_cbranch_vccnz .LBB23_7
; %bb.6:
	v_mov_b64_e32 v[4:5], s[30:31]
	flat_load_dwordx2 v[4:5], v[4:5] offset:8
.LBB23_7:
	s_load_dwordx4 s[28:31], s[0:1], 0x30
	s_load_dwordx2 s[26:27], s[0:1], 0x40
	s_mov_b32 s3, 0
	s_lshl_b64 s[2:3], s[2:3], 2
	s_waitcnt lgkmcnt(0)
	s_add_u32 s2, s30, s2
	s_addc_u32 s3, s31, s3
	s_load_dword s30, s[2:3], 0x0
	s_load_dwordx8 s[16:23], s[0:1], 0x8
	s_waitcnt vmcnt(0)
	scratch_store_dwordx4 off, v[2:5], off
	s_waitcnt lgkmcnt(0)
	s_ashr_i32 s31, s30, 31
	s_lshl_b64 s[36:37], s[30:31], 2
	s_add_u32 s2, s22, s36
	s_addc_u32 s3, s23, s37
	s_load_dword s40, s[2:3], 0x0
	s_waitcnt lgkmcnt(0)
	s_cmp_eq_u32 s40, -1
	s_cbranch_scc1 .LBB23_86
; %bb.8:
	s_add_u32 s2, s16, s36
	s_addc_u32 s3, s17, s37
	s_load_dwordx2 s[4:5], s[2:3], 0x0
	s_load_dwordx2 s[42:43], s[0:1], 0x0
	s_load_dword s31, s[0:1], 0x28
	v_bfe_u32 v1, v0, 10, 10
	s_mov_b64 s[38:39], 0
	s_waitcnt lgkmcnt(0)
	s_sub_i32 s44, s4, s34
	s_sub_i32 s33, s5, s34
	s_cmp_ge_i32 s44, s40
	v_add_u32_e32 v16, 1, v1
	s_cbranch_scc1 .LBB23_59
; %bb.9:
	s_cmp_eq_u32 s42, 0
	s_cselect_b64 vcc, -1, 0
	s_cmp_gt_i32 s31, 0
	s_cselect_b64 s[6:7], -1, 0
	s_add_u32 s0, s0, 0x80
	s_addc_u32 s1, s1, 0
	s_add_i32 s41, s43, 1
	v_and_b32_e32 v2, 0x3ff, v0
	s_cmp_lg_u32 s31, 1
	s_movk_i32 s35, 0x90
	v_lshlrev_b32_e32 v3, 4, v2
	v_max_u32_e32 v4, v2, v1
	v_add_u32_e32 v20, s44, v2
	v_cndmask_b32_e32 v8, v1, v2, vcc
	v_cndmask_b32_e32 v10, v2, v1, vcc
	s_cselect_b64 s[8:9], -1, 0
	s_and_b32 s43, s31, 0x7ffffffe
	v_cndmask_b32_e64 v2, 0, 1, s[6:7]
	v_add_u32_e32 v17, 0x480, v3
	v_mad_u32_u24 v19, v1, s35, v3
	s_bitcmp1_b32 s31, 0
	v_cndmask_b32_e64 v3, 0, 1, s[8:9]
	v_cmp_ne_u32_e64 s[6:7], 1, v2
	v_mbcnt_lo_u32_b32 v2, -1, 0
	v_mul_u32_u24_e32 v11, 0x90, v1
	v_mad_u32_u24 v18, v1, s35, v17
	v_cmp_gt_u32_e64 s[2:3], s31, v4
	v_cmp_eq_u32_e64 s[4:5], 0, v1
	s_cselect_b64 s[46:47], -1, 0
	v_add_u32_e32 v21, 1, v1
	v_mad_u32_u24 v22, v1, s35, s35
	v_add_u32_e32 v23, 0x510, v19
	v_mov_b32_e32 v24, 0
	v_cmp_ne_u32_e64 s[8:9], 1, v3
	v_mbcnt_hi_u32_b32 v25, -1, v2
	s_branch .LBB23_12
.LBB23_10:                              ;   in Loop: Header=BB23_12 Depth=1
	s_mov_b64 s[38:39], -1
.LBB23_11:                              ;   in Loop: Header=BB23_12 Depth=1
	s_add_i32 s44, s44, 1
	s_cmp_lt_i32 s44, s40
	s_cselect_b64 s[12:13], -1, 0
	s_and_b64 s[10:11], s[10:11], s[12:13]
	s_and_b64 vcc, exec, s[10:11]
	s_cbranch_vccz .LBB23_59
.LBB23_12:                              ; =>This Loop Header: Depth=1
                                        ;     Child Loop BB23_16 Depth 2
                                        ;     Child Loop BB23_23 Depth 2
	;; [unrolled: 1-line block ×3, first 2 shown]
                                        ;       Child Loop BB23_48 Depth 3
                                        ;       Child Loop BB23_56 Depth 3
	s_ashr_i32 s45, s44, 31
	s_lshl_b64 s[10:11], s[44:45], 2
	s_add_u32 s10, s18, s10
	s_addc_u32 s11, s19, s11
	global_load_dword v4, v24, s[10:11]
	v_mov_b64_e32 v[2:3], 0
	s_waitcnt vmcnt(0)
	v_readfirstlane_b32 s12, v4
	v_mov_b64_e32 v[4:5], 0
	s_and_saveexec_b64 s[10:11], s[2:3]
	s_cbranch_execz .LBB23_14
; %bb.13:                               ;   in Loop: Header=BB23_12 Depth=1
	s_mul_i32 s13, s44, s31
	v_add_u32_e32 v2, s13, v8
	v_mad_u64_u32 v[2:3], s[48:49], v2, s31, v[10:11]
	v_mov_b32_e32 v3, v24
	v_lshl_add_u64 v[2:3], v[2:3], 4, s[20:21]
	global_load_dwordx4 v[2:5], v[2:3], off
.LBB23_14:                              ;   in Loop: Header=BB23_12 Depth=1
	s_or_b64 exec, exec, s[10:11]
	s_sub_i32 s10, s12, s34
	s_ashr_i32 s11, s10, 31
	s_lshl_b64 s[12:13], s[10:11], 2
	s_add_u32 s10, s22, s12
	s_addc_u32 s11, s23, s13
	global_load_dword v12, v24, s[10:11]
	s_waitcnt vmcnt(1)
	ds_write_b128 v18, v[2:5]
	s_waitcnt vmcnt(0)
	v_cmp_eq_u32_e32 vcc, -1, v12
	v_readfirstlane_b32 s45, v12
	v_cmp_ne_u32_e64 s[10:11], -1, v12
	s_cbranch_vccnz .LBB23_10
; %bb.15:                               ;   in Loop: Header=BB23_12 Depth=1
	s_add_u32 s48, s16, s12
	s_addc_u32 s49, s17, s13
	global_load_dword v2, v24, s[48:49] offset:4
	s_add_u32 s12, s28, s12
	s_addc_u32 s13, s29, s13
	s_waitcnt vmcnt(0)
	v_readfirstlane_b32 s48, v2
.LBB23_16:                              ;   Parent Loop BB23_12 Depth=1
                                        ; =>  This Inner Loop Header: Depth=2
	global_load_dword v2, v24, s[12:13] sc1
	s_waitcnt vmcnt(0)
	v_cmp_eq_u32_e32 vcc, 0, v2
	s_cbranch_vccnz .LBB23_16
; %bb.17:                               ;   in Loop: Header=BB23_12 Depth=1
	v_mov_b64_e32 v[2:3], 0
	v_mov_b64_e32 v[4:5], v[2:3]
	s_waitcnt lgkmcnt(0)
	buffer_inv sc1
	s_and_saveexec_b64 s[12:13], s[2:3]
	s_cbranch_execz .LBB23_19
; %bb.18:                               ;   in Loop: Header=BB23_12 Depth=1
	s_mul_i32 s49, s45, s31
	v_add_u32_e32 v2, s49, v8
	v_mad_u64_u32 v[2:3], s[50:51], v2, s31, v[10:11]
	v_mov_b32_e32 v3, v24
	v_lshl_add_u64 v[2:3], v[2:3], 4, s[20:21]
	global_load_dwordx4 v[2:5], v[2:3], off
.LBB23_19:                              ;   in Loop: Header=BB23_12 Depth=1
	s_or_b64 exec, exec, s[12:13]
	s_and_b64 vcc, exec, s[6:7]
	s_waitcnt vmcnt(0)
	ds_write_b128 v19, v[2:5]
	s_waitcnt lgkmcnt(0)
	s_cbranch_vccnz .LBB23_37
; %bb.20:                               ;   in Loop: Header=BB23_12 Depth=1
	s_and_b64 vcc, exec, s[8:9]
	s_mov_b32 s51, 0
	s_cbranch_vccnz .LBB23_31
; %bb.21:                               ;   in Loop: Header=BB23_12 Depth=1
	s_mov_b32 s49, 0
	v_mov_b32_e32 v12, v17
	v_mov_b32_e32 v13, v23
	;; [unrolled: 1-line block ×3, first 2 shown]
	s_mov_b32 s50, 0
	s_branch .LBB23_23
.LBB23_22:                              ;   in Loop: Header=BB23_23 Depth=2
	s_or_b64 exec, exec, s[12:13]
	s_add_i32 s50, s50, 2
	s_addk_i32 s49, 0x140
	v_add_u32_e32 v14, 0x140, v14
	v_add_u32_e32 v13, 0x120, v13
	;; [unrolled: 1-line block ×3, first 2 shown]
	s_cmp_eq_u32 s43, s50
	s_mov_b32 s51, s43
	s_waitcnt lgkmcnt(0)
	s_cbranch_scc1 .LBB23_31
.LBB23_23:                              ;   Parent Loop BB23_12 Depth=1
                                        ; =>  This Inner Loop Header: Depth=2
	v_mov_b32_e32 v2, s49
	ds_read_b128 v[26:29], v2
	ds_read_b128 v[30:33], v12
	s_waitcnt lgkmcnt(0)
	v_mul_f64 v[2:3], v[28:29], v[28:29]
	v_fmac_f64_e32 v[2:3], v[26:27], v[26:27]
	v_div_scale_f64 v[34:35], s[12:13], v[2:3], v[2:3], 1.0
	v_rcp_f64_e32 v[36:37], v[34:35]
	v_div_scale_f64 v[38:39], vcc, 1.0, v[2:3], 1.0
	v_mul_f64 v[4:5], v[28:29], v[32:33]
	v_fma_f64 v[40:41], -v[34:35], v[36:37], 1.0
	v_fmac_f64_e32 v[36:37], v[36:37], v[40:41]
	v_fma_f64 v[40:41], -v[34:35], v[36:37], 1.0
	v_fmac_f64_e32 v[36:37], v[36:37], v[40:41]
	v_mul_f64 v[40:41], v[38:39], v[36:37]
	v_fma_f64 v[34:35], -v[34:35], v[40:41], v[38:39]
	v_div_fmas_f64 v[34:35], v[34:35], v[36:37], v[40:41]
	v_fmac_f64_e32 v[4:5], v[30:31], v[26:27]
	v_div_fixup_f64 v[34:35], v[34:35], v[2:3], 1.0
	v_mul_f64 v[2:3], v[34:35], v[4:5]
	v_mul_f64 v[4:5], v[28:29], -v[30:31]
	v_fmac_f64_e32 v[4:5], v[32:33], v[26:27]
	v_mul_f64 v[4:5], v[34:35], v[4:5]
	s_and_saveexec_b64 s[12:13], s[4:5]
; %bb.24:                               ;   in Loop: Header=BB23_23 Depth=2
	ds_write_b128 v12, v[2:5]
; %bb.25:                               ;   in Loop: Header=BB23_23 Depth=2
	s_or_b64 exec, exec, s[12:13]
	v_add_u32_e32 v15, s50, v1
	v_add_u32_e32 v26, 1, v15
	v_cmp_gt_i32_e32 vcc, s31, v26
	s_and_saveexec_b64 s[12:13], vcc
	s_cbranch_execz .LBB23_27
; %bb.26:                               ;   in Loop: Header=BB23_23 Depth=2
	ds_read_b128 v[26:29], v14
	ds_read_b128 v[30:33], v13
	s_waitcnt lgkmcnt(0)
	v_fma_f64 v[30:31], -v[2:3], v[26:27], v[30:31]
	v_fma_f64 v[26:27], -v[4:5], v[26:27], v[32:33]
	v_fmac_f64_e32 v[30:31], v[4:5], v[28:29]
	v_fma_f64 v[32:33], -v[2:3], v[28:29], v[26:27]
	ds_write_b128 v13, v[30:33]
.LBB23_27:                              ;   in Loop: Header=BB23_23 Depth=2
	s_or_b64 exec, exec, s[12:13]
	v_mov_b32_e32 v2, s49
	s_waitcnt lgkmcnt(0)
	ds_read_b128 v[26:29], v2 offset:160
	ds_read_b128 v[30:33], v12 offset:144
	s_waitcnt lgkmcnt(0)
	v_mul_f64 v[2:3], v[28:29], v[28:29]
	v_fmac_f64_e32 v[2:3], v[26:27], v[26:27]
	v_div_scale_f64 v[4:5], s[12:13], v[2:3], v[2:3], 1.0
	v_rcp_f64_e32 v[34:35], v[4:5]
	v_div_scale_f64 v[38:39], vcc, 1.0, v[2:3], 1.0
	v_mul_f64 v[36:37], v[28:29], v[32:33]
	v_fma_f64 v[40:41], -v[4:5], v[34:35], 1.0
	v_fmac_f64_e32 v[34:35], v[34:35], v[40:41]
	v_fma_f64 v[40:41], -v[4:5], v[34:35], 1.0
	v_fmac_f64_e32 v[34:35], v[34:35], v[40:41]
	v_mul_f64 v[40:41], v[38:39], v[34:35]
	v_fma_f64 v[4:5], -v[4:5], v[40:41], v[38:39]
	v_div_fmas_f64 v[4:5], v[4:5], v[34:35], v[40:41]
	v_mul_f64 v[28:29], v[28:29], -v[30:31]
	v_div_fixup_f64 v[4:5], v[4:5], v[2:3], 1.0
	v_fmac_f64_e32 v[36:37], v[30:31], v[26:27]
	v_fmac_f64_e32 v[28:29], v[32:33], v[26:27]
	v_mul_f64 v[2:3], v[4:5], v[36:37]
	v_mul_f64 v[4:5], v[4:5], v[28:29]
	s_and_saveexec_b64 s[12:13], s[4:5]
; %bb.28:                               ;   in Loop: Header=BB23_23 Depth=2
	ds_write_b128 v12, v[2:5] offset:144
; %bb.29:                               ;   in Loop: Header=BB23_23 Depth=2
	s_or_b64 exec, exec, s[12:13]
	v_add_u32_e32 v15, 2, v15
	v_cmp_gt_i32_e32 vcc, s31, v15
	s_and_saveexec_b64 s[12:13], vcc
	s_cbranch_execz .LBB23_22
; %bb.30:                               ;   in Loop: Header=BB23_23 Depth=2
	ds_read_b128 v[26:29], v14 offset:160
	ds_read_b128 v[30:33], v13 offset:144
	s_waitcnt lgkmcnt(0)
	v_fma_f64 v[30:31], -v[2:3], v[26:27], v[30:31]
	v_fma_f64 v[26:27], -v[4:5], v[26:27], v[32:33]
	v_fmac_f64_e32 v[30:31], v[4:5], v[28:29]
	v_fma_f64 v[32:33], -v[2:3], v[28:29], v[26:27]
	ds_write_b128 v13, v[30:33] offset:144
	s_branch .LBB23_22
.LBB23_31:                              ;   in Loop: Header=BB23_12 Depth=1
	s_andn2_b64 vcc, exec, s[46:47]
	s_cbranch_vccnz .LBB23_37
; %bb.32:                               ;   in Loop: Header=BB23_12 Depth=1
	s_mul_i32 s12, s51, 0x90
	s_lshl_b32 s13, s51, 4
	s_add_i32 s49, s12, s13
	v_mov_b32_e32 v2, s49
	ds_read_b128 v[26:29], v2
	v_add_u32_e32 v12, s12, v17
	ds_read_b128 v[30:33], v12
	s_waitcnt lgkmcnt(0)
	v_mul_f64 v[2:3], v[28:29], v[28:29]
	v_fmac_f64_e32 v[2:3], v[26:27], v[26:27]
	v_div_scale_f64 v[4:5], s[12:13], v[2:3], v[2:3], 1.0
	v_rcp_f64_e32 v[14:15], v[4:5]
	v_div_scale_f64 v[34:35], vcc, 1.0, v[2:3], 1.0
	v_fma_f64 v[36:37], -v[4:5], v[14:15], 1.0
	v_fmac_f64_e32 v[14:15], v[14:15], v[36:37]
	v_fma_f64 v[36:37], -v[4:5], v[14:15], 1.0
	v_fmac_f64_e32 v[14:15], v[14:15], v[36:37]
	v_mul_f64 v[36:37], v[34:35], v[14:15]
	v_fma_f64 v[4:5], -v[4:5], v[36:37], v[34:35]
	v_div_fmas_f64 v[4:5], v[4:5], v[14:15], v[36:37]
	v_div_fixup_f64 v[4:5], v[4:5], v[2:3], 1.0
	v_mul_f64 v[2:3], v[28:29], v[32:33]
	v_mul_f64 v[14:15], v[28:29], -v[30:31]
	v_fmac_f64_e32 v[2:3], v[30:31], v[26:27]
	v_fmac_f64_e32 v[14:15], v[32:33], v[26:27]
	v_mul_f64 v[2:3], v[4:5], v[2:3]
	v_mul_f64 v[4:5], v[4:5], v[14:15]
	s_and_saveexec_b64 s[12:13], s[4:5]
; %bb.33:                               ;   in Loop: Header=BB23_12 Depth=1
	ds_write_b128 v12, v[2:5]
; %bb.34:                               ;   in Loop: Header=BB23_12 Depth=1
	s_or_b64 exec, exec, s[12:13]
	v_add_u32_e32 v13, s51, v21
	v_cmp_gt_i32_e32 vcc, s31, v13
	s_and_saveexec_b64 s[12:13], vcc
	s_cbranch_execz .LBB23_36
; %bb.35:                               ;   in Loop: Header=BB23_12 Depth=1
	v_mov_b32_e32 v13, s49
	v_mad_u32_u24 v13, v1, s35, v13
	v_mad_u32_u24 v30, v1, s35, v12
	ds_read_b128 v[12:15], v13 offset:144
	ds_read_b128 v[26:29], v30 offset:144
	s_waitcnt lgkmcnt(0)
	v_fma_f64 v[26:27], -v[2:3], v[12:13], v[26:27]
	v_fma_f64 v[12:13], -v[4:5], v[12:13], v[28:29]
	v_fmac_f64_e32 v[26:27], v[4:5], v[14:15]
	v_fma_f64 v[28:29], -v[2:3], v[14:15], v[12:13]
	ds_write_b128 v30, v[26:29] offset:144
.LBB23_36:                              ;   in Loop: Header=BB23_12 Depth=1
	s_or_b64 exec, exec, s[12:13]
	s_waitcnt lgkmcnt(0)
.LBB23_37:                              ;   in Loop: Header=BB23_12 Depth=1
	s_and_saveexec_b64 s[12:13], s[2:3]
	s_cbranch_execz .LBB23_39
; %bb.38:                               ;   in Loop: Header=BB23_12 Depth=1
	s_mul_i32 s49, s44, s31
	ds_read2_b64 v[2:5], v18 offset1:1
	v_add_u32_e32 v12, s49, v8
	v_mad_u64_u32 v[12:13], s[50:51], v12, s31, v[10:11]
	v_mov_b32_e32 v13, v24
	v_lshl_add_u64 v[12:13], v[12:13], 4, s[20:21]
	s_waitcnt lgkmcnt(0)
	global_store_dwordx4 v[12:13], v[2:5], off
.LBB23_39:                              ;   in Loop: Header=BB23_12 Depth=1
	s_or_b64 exec, exec, s[12:13]
	s_sub_i32 s56, s48, s34
	s_add_i32 s48, s45, 1
	s_cmp_ge_i32 s48, s56
	s_cbranch_scc1 .LBB23_11
; %bb.40:                               ;   in Loop: Header=BB23_12 Depth=1
	s_load_dword s12, s[0:1], 0xc
	s_waitcnt lgkmcnt(0)
	s_and_b32 s12, s12, 0xffff
	v_mad_u32_u24 v2, v1, s12, v20
	v_ashrrev_i32_e32 v3, 31, v2
	v_cmp_gt_i32_e64 s[12:13], s33, v2
	v_lshl_add_u64 v[4:5], v[2:3], 2, s[18:19]
	s_branch .LBB23_43
.LBB23_41:                              ;   in Loop: Header=BB23_43 Depth=2
	s_or_b64 exec, exec, s[50:51]
.LBB23_42:                              ;   in Loop: Header=BB23_43 Depth=2
	s_add_i32 s48, s48, 1
	s_cmp_lt_i32 s48, s56
	s_cbranch_scc0 .LBB23_11
.LBB23_43:                              ;   Parent Loop BB23_12 Depth=1
                                        ; =>  This Loop Header: Depth=2
                                        ;       Child Loop BB23_48 Depth 3
                                        ;       Child Loop BB23_56 Depth 3
	s_ashr_i32 s49, s48, 31
	s_lshl_b64 s[50:51], s[48:49], 2
	s_add_u32 s50, s18, s50
	s_addc_u32 s51, s19, s51
	global_load_dword v3, v24, s[50:51]
	v_mov_b32_e32 v13, s41
	s_and_saveexec_b64 s[50:51], s[12:13]
	s_cbranch_execz .LBB23_45
; %bb.44:                               ;   in Loop: Header=BB23_43 Depth=2
	global_load_dword v12, v[4:5], off
	s_waitcnt vmcnt(0)
	v_subrev_u32_e32 v13, s34, v12
.LBB23_45:                              ;   in Loop: Header=BB23_43 Depth=2
	s_or_b64 exec, exec, s[50:51]
	s_waitcnt vmcnt(0)
	v_subrev_u32_e32 v3, s34, v3
	v_cmp_lt_i32_e32 vcc, v13, v3
	v_mov_b32_e32 v14, v2
	s_and_saveexec_b64 s[50:51], vcc
	s_cbranch_execz .LBB23_51
; %bb.46:                               ;   in Loop: Header=BB23_43 Depth=2
	s_mov_b64 s[52:53], 0
	v_mov_b32_e32 v12, v2
	s_branch .LBB23_48
.LBB23_47:                              ;   in Loop: Header=BB23_48 Depth=3
	s_or_b64 exec, exec, s[54:55]
	v_cmp_ge_i32_e32 vcc, v13, v3
	s_or_b64 s[52:53], vcc, s[52:53]
	v_mov_b32_e32 v12, v14
	s_andn2_b64 exec, exec, s[52:53]
	s_cbranch_execz .LBB23_50
.LBB23_48:                              ;   Parent Loop BB23_12 Depth=1
                                        ;     Parent Loop BB23_43 Depth=2
                                        ; =>    This Inner Loop Header: Depth=3
	v_add_u32_e32 v14, 64, v12
	v_cmp_gt_i32_e32 vcc, s33, v14
	v_mov_b32_e32 v13, s41
	s_and_saveexec_b64 s[54:55], vcc
	s_cbranch_execz .LBB23_47
; %bb.49:                               ;   in Loop: Header=BB23_48 Depth=3
	v_ashrrev_i32_e32 v13, 31, v12
	v_lshl_add_u64 v[12:13], v[12:13], 2, s[18:19]
	global_load_dword v12, v[12:13], off offset:256
	s_waitcnt vmcnt(0)
	v_subrev_u32_e32 v13, s34, v12
	s_branch .LBB23_47
.LBB23_50:                              ;   in Loop: Header=BB23_43 Depth=2
	s_or_b64 exec, exec, s[52:53]
.LBB23_51:                              ;   in Loop: Header=BB23_43 Depth=2
	s_or_b64 exec, exec, s[50:51]
	v_cmp_eq_u32_e32 vcc, v13, v3
	s_cbranch_vccz .LBB23_42
; %bb.52:                               ;   in Loop: Header=BB23_43 Depth=2
	s_ff1_i32_b64 s45, vcc
	v_and_or_b32 v3, v25, 64, s45
	v_lshlrev_b32_e32 v3, 2, v3
	ds_bpermute_b32 v3, v3, v14
	v_mov_b64_e32 v[12:13], 0
	v_mov_b64_e32 v[28:29], 0
	;; [unrolled: 1-line block ×3, first 2 shown]
	s_and_saveexec_b64 s[50:51], s[2:3]
	s_cbranch_execz .LBB23_54
; %bb.53:                               ;   in Loop: Header=BB23_43 Depth=2
	s_mul_i32 s45, s48, s31
	v_add_u32_e32 v14, s45, v8
	v_mad_u64_u32 v[14:15], s[52:53], v14, s31, v[10:11]
	v_mov_b32_e32 v15, v24
	v_lshl_add_u64 v[14:15], v[14:15], 4, s[20:21]
	global_load_dwordx4 v[26:29], v[14:15], off
.LBB23_54:                              ;   in Loop: Header=BB23_43 Depth=2
	s_or_b64 exec, exec, s[50:51]
	s_and_b64 vcc, exec, s[6:7]
	v_mov_b64_e32 v[14:15], 0
	s_waitcnt vmcnt(0)
	ds_write_b128 v19, v[26:29]
	s_waitcnt lgkmcnt(0)
	s_cbranch_vccnz .LBB23_57
; %bb.55:                               ;   in Loop: Header=BB23_43 Depth=2
	v_mov_b64_e32 v[12:13], 0
	v_mov_b32_e32 v26, v17
	v_mov_b32_e32 v27, v11
	s_mov_b32 s45, s31
	v_mov_b64_e32 v[14:15], 0
.LBB23_56:                              ;   Parent Loop BB23_12 Depth=1
                                        ;     Parent Loop BB23_43 Depth=2
                                        ; =>    This Inner Loop Header: Depth=3
	ds_read_b128 v[28:31], v26
	ds_read_b128 v[32:35], v27
	s_add_i32 s45, s45, -1
	v_add_u32_e32 v27, 16, v27
	v_add_u32_e32 v26, 0x90, v26
	s_cmp_eq_u32 s45, 0
	s_waitcnt lgkmcnt(0)
	v_fmac_f64_e32 v[12:13], v[28:29], v[32:33]
	v_fmac_f64_e32 v[14:15], v[30:31], v[32:33]
	v_fma_f64 v[12:13], -v[30:31], v[34:35], v[12:13]
	v_fmac_f64_e32 v[14:15], v[28:29], v[34:35]
	s_cbranch_scc0 .LBB23_56
.LBB23_57:                              ;   in Loop: Header=BB23_43 Depth=2
	s_and_saveexec_b64 s[50:51], s[2:3]
	s_cbranch_execz .LBB23_41
; %bb.58:                               ;   in Loop: Header=BB23_43 Depth=2
	v_mad_u64_u32 v[26:27], s[52:53], v3, s31, v[8:9]
	v_mad_u64_u32 v[26:27], s[52:53], v26, s31, v[10:11]
	v_mov_b32_e32 v27, v24
	v_lshl_add_u64 v[30:31], v[26:27], 4, s[20:21]
	global_load_dwordx4 v[26:29], v[30:31], off
	s_waitcnt vmcnt(0)
	v_add_f64 v[12:13], v[26:27], -v[12:13]
	v_add_f64 v[14:15], v[28:29], -v[14:15]
	global_store_dwordx4 v[30:31], v[12:15], off
	s_branch .LBB23_41
.LBB23_59:
	s_ashr_i32 s41, s40, 31
	s_lshl_b64 s[0:1], s[40:41], 2
	s_add_u32 s0, s18, s0
	s_addc_u32 s1, s19, s1
	v_mov_b32_e32 v2, 0
	global_load_dword v2, v2, s[0:1]
	s_waitcnt vmcnt(0)
	v_subrev_u32_e32 v2, s34, v2
	v_cmp_ne_u32_e32 vcc, s30, v2
	s_cbranch_vccnz .LBB23_90
; %bb.60:
	v_and_b32_e32 v14, 0x3ff, v0
	v_max_u32_e32 v2, v14, v1
	v_mov_b64_e32 v[12:13], 0
	v_cmp_gt_u32_e64 s[2:3], s31, v2
	v_mov_b64_e32 v[10:11], v[12:13]
	s_and_saveexec_b64 s[0:1], s[2:3]
	s_cbranch_execz .LBB23_62
; %bb.61:
	s_cmp_eq_u32 s42, 0
	s_cselect_b64 vcc, -1, 0
	s_mul_i32 s4, s40, s31
	v_cndmask_b32_e32 v3, v1, v14, vcc
	v_cndmask_b32_e32 v2, v14, v1, vcc
	v_add_u32_e32 v3, s4, v3
	v_mad_u64_u32 v[2:3], s[4:5], v3, s31, v[2:3]
	v_mov_b32_e32 v3, 0
	v_lshl_add_u64 v[2:3], v[2:3], 4, s[20:21]
	global_load_dwordx4 v[10:13], v[2:3], off
.LBB23_62:
	s_or_b64 exec, exec, s[0:1]
	v_lshlrev_b32_e32 v2, 4, v14
	s_movk_i32 s0, 0x90
	v_mad_u32_u24 v15, v1, s0, v2
	s_cmp_lt_i32 s31, 1
	s_waitcnt vmcnt(0)
	ds_write_b128 v15, v[10:13]
	s_waitcnt lgkmcnt(0)
	s_cbranch_scc1 .LBB23_87
; %bb.63:
	s_cmp_eq_u64 s[24:25], 8
	v_or_b32_e32 v3, v14, v1
	v_cvt_f64_f32_e32 v[4:5], v9
	s_cselect_b64 vcc, -1, 0
	v_cmp_eq_u32_e64 s[4:5], 0, v3
	v_mul_u32_u24_e32 v3, 0x90, v1
	s_movk_i32 s1, 0xa0
	s_mov_b32 s8, 0
	v_cndmask_b32_e32 v7, v5, v7, vcc
	v_cndmask_b32_e32 v6, v4, v6, vcc
	s_mov_b32 s18, 0
	v_cmp_eq_u32_e64 s[6:7], 0, v1
	v_add3_u32 v17, v3, v2, s1
	v_mad_u32_u24 v18, v1, s0, s0
	v_add_u32_e32 v19, 1, v14
	v_add_u32_e32 v20, 16, v2
	v_mov_b32_e32 v27, 0
	s_brev_b32 s9, 8
	v_mov_b32_e32 v21, 0x260
	v_mov_b32_e32 v22, 0x100
	;; [unrolled: 1-line block ×6, first 2 shown]
	s_mov_b32 s19, s31
	s_branch .LBB23_65
.LBB23_64:                              ;   in Loop: Header=BB23_65 Depth=1
	s_or_b64 exec, exec, s[10:11]
	s_add_i32 s19, s19, -1
	s_addk_i32 s18, 0xa0
	v_add_u32_e32 v17, 0xa0, v17
	v_add_u32_e32 v18, 0xa0, v18
	;; [unrolled: 1-line block ×5, first 2 shown]
	s_cmp_eq_u32 s19, 0
	v_mov_b32_e32 v27, v2
	s_cbranch_scc1 .LBB23_87
.LBB23_65:                              ; =>This Inner Loop Header: Depth=1
	v_mov_b32_e32 v2, s18
	ds_read2_b64 v[2:5], v2 offset1:1
	s_mov_b64 s[12:13], -1
	s_and_b64 vcc, exec, s[14:15]
	s_mov_b64 s[10:11], 0
	s_waitcnt lgkmcnt(0)
	scratch_store_dwordx4 off, v[2:5], off offset:16
	s_cbranch_vccz .LBB23_68
; %bb.66:                               ;   in Loop: Header=BB23_65 Depth=1
	s_mov_b64 s[0:1], 0
	s_and_b64 vcc, exec, s[12:13]
	s_cbranch_vccnz .LBB23_77
.LBB23_67:                              ;   in Loop: Header=BB23_65 Depth=1
                                        ; implicit-def: $vgpr2
	s_and_saveexec_b64 s[12:13], s[10:11]
	s_xor_b64 s[10:11], exec, s[12:13]
	s_cbranch_execnz .LBB23_78
	s_branch .LBB23_84
.LBB23_68:                              ;   in Loop: Header=BB23_65 Depth=1
	v_xor_b32_e32 v8, 0x80000000, v3
	v_cmp_gt_f64_e32 vcc, 0, v[2:3]
	v_xor_b32_e32 v10, 0x80000000, v5
                                        ; implicit-def: $vgpr12_vgpr13
	s_nop 0
	v_cndmask_b32_e32 v9, v3, v8, vcc
	v_cmp_gt_f64_e32 vcc, 0, v[4:5]
	v_mov_b32_e32 v8, v2
	s_nop 0
	v_cndmask_b32_e32 v11, v5, v10, vcc
	v_mov_b32_e32 v10, v4
	v_cmp_ngt_f64_e32 vcc, v[8:9], v[10:11]
	s_and_saveexec_b64 s[0:1], vcc
	s_xor_b64 s[0:1], exec, s[0:1]
	s_cbranch_execz .LBB23_72
; %bb.69:                               ;   in Loop: Header=BB23_65 Depth=1
	v_mov_b64_e32 v[12:13], 0
	v_cmp_neq_f64_e32 vcc, 0, v[4:5]
	s_and_saveexec_b64 s[10:11], vcc
	s_cbranch_execz .LBB23_71
; %bb.70:                               ;   in Loop: Header=BB23_65 Depth=1
	v_div_scale_f64 v[12:13], s[12:13], v[10:11], v[10:11], v[8:9]
	v_rcp_f64_e32 v[28:29], v[12:13]
	v_div_scale_f64 v[30:31], vcc, v[8:9], v[10:11], v[8:9]
	v_fma_f64 v[32:33], -v[12:13], v[28:29], 1.0
	v_fmac_f64_e32 v[28:29], v[28:29], v[32:33]
	v_fma_f64 v[32:33], -v[12:13], v[28:29], 1.0
	v_fmac_f64_e32 v[28:29], v[28:29], v[32:33]
	v_mul_f64 v[32:33], v[30:31], v[28:29]
	v_fma_f64 v[12:13], -v[12:13], v[32:33], v[30:31]
	v_div_fmas_f64 v[12:13], v[12:13], v[28:29], v[32:33]
	v_div_fixup_f64 v[8:9], v[12:13], v[10:11], v[8:9]
	v_fma_f64 v[8:9], v[8:9], v[8:9], 1.0
	v_cmp_gt_f64_e32 vcc, s[8:9], v[8:9]
	s_nop 1
	v_cndmask_b32_e32 v12, 0, v22, vcc
	v_ldexp_f64 v[8:9], v[8:9], v12
	v_rsq_f64_e32 v[12:13], v[8:9]
	s_nop 0
	v_mul_f64 v[28:29], v[8:9], v[12:13]
	v_mul_f64 v[12:13], v[12:13], 0.5
	v_fma_f64 v[30:31], -v[12:13], v[28:29], 0.5
	v_fmac_f64_e32 v[28:29], v[28:29], v[30:31]
	v_fma_f64 v[32:33], -v[28:29], v[28:29], v[8:9]
	v_fmac_f64_e32 v[12:13], v[12:13], v[30:31]
	v_fmac_f64_e32 v[28:29], v[32:33], v[12:13]
	v_fma_f64 v[30:31], -v[28:29], v[28:29], v[8:9]
	v_fmac_f64_e32 v[28:29], v[30:31], v[12:13]
	v_cndmask_b32_e32 v12, 0, v23, vcc
	v_ldexp_f64 v[12:13], v[28:29], v12
	v_cmp_class_f64_e32 vcc, v[8:9], v21
	s_nop 1
	v_cndmask_b32_e32 v9, v13, v9, vcc
	v_cndmask_b32_e32 v8, v12, v8, vcc
	v_mul_f64 v[12:13], v[10:11], v[8:9]
.LBB23_71:                              ;   in Loop: Header=BB23_65 Depth=1
	s_or_b64 exec, exec, s[10:11]
                                        ; implicit-def: $vgpr8_vgpr9
                                        ; implicit-def: $vgpr10_vgpr11
.LBB23_72:                              ;   in Loop: Header=BB23_65 Depth=1
	s_andn2_saveexec_b64 s[0:1], s[0:1]
	s_cbranch_execz .LBB23_74
; %bb.73:                               ;   in Loop: Header=BB23_65 Depth=1
	v_div_scale_f64 v[12:13], s[10:11], v[8:9], v[8:9], v[10:11]
	v_rcp_f64_e32 v[28:29], v[12:13]
	v_div_scale_f64 v[30:31], vcc, v[10:11], v[8:9], v[10:11]
	v_fma_f64 v[32:33], -v[12:13], v[28:29], 1.0
	v_fmac_f64_e32 v[28:29], v[28:29], v[32:33]
	v_fma_f64 v[32:33], -v[12:13], v[28:29], 1.0
	v_fmac_f64_e32 v[28:29], v[28:29], v[32:33]
	v_mul_f64 v[32:33], v[30:31], v[28:29]
	v_fma_f64 v[12:13], -v[12:13], v[32:33], v[30:31]
	v_div_fmas_f64 v[12:13], v[12:13], v[28:29], v[32:33]
	v_div_fixup_f64 v[10:11], v[12:13], v[8:9], v[10:11]
	v_fma_f64 v[10:11], v[10:11], v[10:11], 1.0
	v_cmp_gt_f64_e32 vcc, s[8:9], v[10:11]
	s_nop 1
	v_cndmask_b32_e32 v12, 0, v22, vcc
	v_ldexp_f64 v[10:11], v[10:11], v12
	v_rsq_f64_e32 v[12:13], v[10:11]
	s_nop 0
	v_mul_f64 v[28:29], v[10:11], v[12:13]
	v_mul_f64 v[12:13], v[12:13], 0.5
	v_fma_f64 v[30:31], -v[12:13], v[28:29], 0.5
	v_fmac_f64_e32 v[28:29], v[28:29], v[30:31]
	v_fma_f64 v[32:33], -v[28:29], v[28:29], v[10:11]
	v_fmac_f64_e32 v[12:13], v[12:13], v[30:31]
	v_fmac_f64_e32 v[28:29], v[32:33], v[12:13]
	v_fma_f64 v[30:31], -v[28:29], v[28:29], v[10:11]
	v_fmac_f64_e32 v[28:29], v[30:31], v[12:13]
	v_cndmask_b32_e32 v12, 0, v23, vcc
	v_ldexp_f64 v[12:13], v[28:29], v12
	v_cmp_class_f64_e32 vcc, v[10:11], v21
	s_nop 1
	v_cndmask_b32_e32 v11, v13, v11, vcc
	v_cndmask_b32_e32 v10, v12, v10, vcc
	v_mul_f64 v[12:13], v[8:9], v[10:11]
.LBB23_74:                              ;   in Loop: Header=BB23_65 Depth=1
	s_or_b64 exec, exec, s[0:1]
	v_cmp_ge_f64_e32 vcc, v[6:7], v[12:13]
	s_nop 1
	v_cndmask_b32_e32 v8, v24, v25, vcc
	scratch_load_dwordx4 v[8:11], v8, off
	s_waitcnt vmcnt(0)
	scratch_store_dwordx4 off, v[8:11], off offset:16
	s_and_saveexec_b64 s[0:1], s[4:5]
	s_cbranch_execz .LBB23_76
; %bb.75:                               ;   in Loop: Header=BB23_65 Depth=1
	scratch_load_dwordx4 v[8:11], off, off offset:16
	v_mov_b32_e32 v12, s18
	s_waitcnt vmcnt(0)
	ds_write2_b64 v12, v[8:9], v[10:11] offset1:1
.LBB23_76:                              ;   in Loop: Header=BB23_65 Depth=1
	s_or_b64 exec, exec, s[0:1]
	s_mov_b64 s[10:11], -1
	s_mov_b64 s[0:1], 0
	s_branch .LBB23_67
.LBB23_77:                              ;   in Loop: Header=BB23_65 Depth=1
	v_cmp_neq_f64_e32 vcc, 0, v[2:3]
	v_cmp_neq_f64_e64 s[0:1], 0, v[4:5]
	s_or_b64 s[12:13], vcc, s[0:1]
	s_andn2_b64 s[10:11], s[10:11], exec
	s_and_b64 s[12:13], s[12:13], exec
	s_mov_b64 s[0:1], -1
	s_or_b64 s[10:11], s[10:11], s[12:13]
                                        ; implicit-def: $vgpr2
	s_and_saveexec_b64 s[12:13], s[10:11]
	s_xor_b64 s[10:11], exec, s[12:13]
	s_cbranch_execz .LBB23_84
.LBB23_78:                              ;   in Loop: Header=BB23_65 Depth=1
	v_cmp_gt_i32_e32 vcc, s31, v19
	s_and_saveexec_b64 s[12:13], vcc
	s_cbranch_execz .LBB23_83
; %bb.79:                               ;   in Loop: Header=BB23_65 Depth=1
	scratch_load_dwordx4 v[2:5], off, off offset:16
	ds_read_b128 v[8:11], v20
	s_waitcnt vmcnt(0) lgkmcnt(0)
	v_mul_f64 v[12:13], v[4:5], v[4:5]
	v_mul_f64 v[28:29], v[10:11], v[4:5]
	v_fmac_f64_e32 v[12:13], v[2:3], v[2:3]
	v_mul_f64 v[4:5], v[4:5], -v[8:9]
	v_fmac_f64_e32 v[28:29], v[8:9], v[2:3]
	v_div_scale_f64 v[8:9], s[16:17], v[12:13], v[12:13], 1.0
	v_rcp_f64_e32 v[30:31], v[8:9]
	v_fmac_f64_e32 v[4:5], v[10:11], v[2:3]
	v_div_scale_f64 v[2:3], vcc, 1.0, v[12:13], 1.0
	v_fma_f64 v[10:11], -v[8:9], v[30:31], 1.0
	v_fmac_f64_e32 v[30:31], v[30:31], v[10:11]
	v_fma_f64 v[10:11], -v[8:9], v[30:31], 1.0
	v_fmac_f64_e32 v[30:31], v[30:31], v[10:11]
	v_mul_f64 v[10:11], v[2:3], v[30:31]
	v_fma_f64 v[2:3], -v[8:9], v[10:11], v[2:3]
	v_div_fmas_f64 v[2:3], v[2:3], v[30:31], v[10:11]
	v_div_fixup_f64 v[8:9], v[2:3], v[12:13], 1.0
	v_mul_f64 v[2:3], v[28:29], v[8:9]
	v_mul_f64 v[4:5], v[4:5], v[8:9]
	s_and_saveexec_b64 s[16:17], s[6:7]
; %bb.80:                               ;   in Loop: Header=BB23_65 Depth=1
	ds_write_b128 v20, v[2:5]
; %bb.81:                               ;   in Loop: Header=BB23_65 Depth=1
	s_or_b64 exec, exec, s[16:17]
	v_cmp_gt_i32_e32 vcc, s31, v26
	s_and_b64 exec, exec, vcc
	s_cbranch_execz .LBB23_83
; %bb.82:                               ;   in Loop: Header=BB23_65 Depth=1
	ds_read_b128 v[8:11], v18
	ds_read_b128 v[28:31], v17
	s_waitcnt lgkmcnt(0)
	v_fma_f64 v[28:29], -v[2:3], v[8:9], v[28:29]
	v_fma_f64 v[8:9], -v[4:5], v[8:9], v[30:31]
	v_fmac_f64_e32 v[28:29], v[4:5], v[10:11]
	v_fma_f64 v[30:31], -v[2:3], v[10:11], v[8:9]
	ds_write_b128 v17, v[28:31]
.LBB23_83:                              ;   in Loop: Header=BB23_65 Depth=1
	s_or_b64 exec, exec, s[12:13]
	v_add_u32_e32 v2, 1, v27
	s_andn2_b64 s[0:1], s[0:1], exec
.LBB23_84:                              ;   in Loop: Header=BB23_65 Depth=1
	s_or_b64 exec, exec, s[10:11]
	s_andn2_b64 s[10:11], s[38:39], exec
	s_and_b64 s[12:13], s[38:39], exec
	s_or_b64 s[38:39], s[10:11], s[12:13]
	s_and_saveexec_b64 s[10:11], s[0:1]
	s_cbranch_execz .LBB23_64
; %bb.85:                               ;   in Loop: Header=BB23_65 Depth=1
	v_add_u32_e32 v2, 1, v27
	s_or_b64 s[38:39], s[38:39], exec
	s_branch .LBB23_64
.LBB23_86:
	s_mov_b64 s[38:39], -1
	s_branch .LBB23_114
.LBB23_87:
	s_waitcnt lgkmcnt(0)
	s_and_saveexec_b64 s[0:1], s[2:3]
	s_cbranch_execz .LBB23_89
; %bb.88:
	s_cmp_eq_u32 s42, 0
	s_cselect_b64 vcc, -1, 0
	s_mul_i32 s2, s40, s31
	v_cndmask_b32_e32 v2, v1, v14, vcc
	v_add_u32_e32 v7, s2, v2
	ds_read2_b64 v[2:5], v15 offset1:1
	v_cndmask_b32_e32 v6, v14, v1, vcc
	v_mad_u64_u32 v[6:7], s[2:3], v7, s31, v[6:7]
	v_mov_b32_e32 v7, 0
	v_lshl_add_u64 v[6:7], v[6:7], 4, s[20:21]
	s_waitcnt lgkmcnt(0)
	global_store_dwordx4 v[6:7], v[2:5], off
.LBB23_89:
	s_or_b64 exec, exec, s[0:1]
.LBB23_90:
	s_add_i32 s10, s40, 1
	s_cmp_ge_i32 s10, s33
	s_cbranch_scc1 .LBB23_114
; %bb.91:
	s_cmp_eq_u32 s42, 0
	s_cselect_b64 vcc, -1, 0
	s_cmp_gt_i32 s31, 0
	v_and_b32_e32 v6, 0x3ff, v0
	s_cselect_b64 s[2:3], -1, 0
	s_add_i32 s4, s31, -1
	s_and_b32 s11, s31, 3
	v_mul_u32_u24_e32 v2, 0x90, v1
	v_lshlrev_b32_e32 v3, 4, v6
	s_movk_i32 s0, 0x480
	s_cmp_gt_u32 s4, 2
	s_movk_i32 s8, 0x90
	v_add3_u32 v3, v2, v3, s0
	v_max_u32_e32 v2, v6, v1
	s_cselect_b64 s[4:5], -1, 0
	s_and_b32 s12, s31, 0x7ffffffc
	v_mov_b32_e32 v7, 0x480
	v_cndmask_b32_e64 v10, 0, 1, s[2:3]
	v_cmp_gt_u32_e64 s[0:1], s31, v2
	v_cndmask_b32_e32 v4, v1, v6, vcc
	v_cndmask_b32_e32 v2, v6, v1, vcc
	s_cmp_lg_u32 s11, 0
	v_lshlrev_b32_e32 v5, 4, v1
	v_mul_u32_u24_e32 v8, 0x90, v6
	v_mad_u32_u24 v6, v6, s8, v7
	s_movk_i32 s8, 0x490
	v_cmp_ne_u32_e64 s[2:3], 1, v10
	v_cndmask_b32_e64 v10, 0, 1, s[4:5]
	s_cselect_b64 s[6:7], -1, 0
	v_add_u32_e32 v7, 16, v5
	v_add3_u32 v8, v8, v5, s8
	v_mov_b32_e32 v9, 0
	v_cmp_ne_u32_e64 s[4:5], 1, v10
	s_branch .LBB23_93
.LBB23_92:                              ;   in Loop: Header=BB23_93 Depth=1
	s_or_b64 exec, exec, s[8:9]
	s_add_i32 s10, s10, 1
	s_cmp_lt_i32 s10, s33
	s_cbranch_scc0 .LBB23_114
.LBB23_93:                              ; =>This Loop Header: Depth=1
                                        ;     Child Loop BB23_99 Depth 2
                                        ;     Child Loop BB23_110 Depth 2
	s_mul_i32 s8, s10, s31
	v_mov_b64_e32 v[14:15], 0
	v_add_u32_e32 v10, s8, v4
	v_mov_b64_e32 v[12:13], 0
	s_waitcnt lgkmcnt(0)
	s_and_saveexec_b64 s[8:9], s[0:1]
	s_cbranch_execz .LBB23_95
; %bb.94:                               ;   in Loop: Header=BB23_93 Depth=1
	v_mad_u64_u32 v[12:13], s[14:15], v10, s31, v[2:3]
	v_mov_b32_e32 v13, v9
	v_lshl_add_u64 v[12:13], v[12:13], 4, s[20:21]
	global_load_dwordx4 v[12:15], v[12:13], off
.LBB23_95:                              ;   in Loop: Header=BB23_93 Depth=1
	s_or_b64 exec, exec, s[8:9]
	s_and_b64 vcc, exec, s[2:3]
	s_waitcnt vmcnt(0)
	ds_write_b128 v3, v[12:15]
	s_waitcnt lgkmcnt(0)
	s_cbranch_vccnz .LBB23_112
; %bb.96:                               ;   in Loop: Header=BB23_93 Depth=1
	s_and_b64 vcc, exec, s[4:5]
	s_mov_b32 s8, 0
	s_cbranch_vccnz .LBB23_107
; %bb.97:                               ;   in Loop: Header=BB23_93 Depth=1
	s_mov_b32 s13, 0
	s_mov_b32 s14, 16
	v_mov_b32_e32 v11, v6
	s_branch .LBB23_99
.LBB23_98:                              ;   in Loop: Header=BB23_99 Depth=2
	s_or_b64 exec, exec, s[8:9]
	s_add_i32 s13, s13, 4
	s_addk_i32 s14, 0x280
	v_add_u32_e32 v11, 64, v11
	s_cmp_eq_u32 s12, s13
	s_mov_b32 s8, s12
	s_cbranch_scc1 .LBB23_107
.LBB23_99:                              ;   Parent Loop BB23_93 Depth=1
                                        ; =>  This Inner Loop Header: Depth=2
	v_add_u32_e32 v14, s13, v1
	v_add_u32_e32 v12, 1, v14
	v_cmp_gt_i32_e32 vcc, s31, v12
	v_add_u32_e32 v13, s14, v5
	v_add_u32_e32 v12, v11, v5
	s_and_saveexec_b64 s[8:9], vcc
	s_cbranch_execz .LBB23_101
; %bb.100:                              ;   in Loop: Header=BB23_99 Depth=2
	ds_read_b128 v[18:21], v13
	ds_read_b128 v[22:25], v11
	ds_read_b128 v[26:29], v12 offset:16
	s_waitcnt lgkmcnt(0)
	v_fma_f64 v[26:27], -v[18:19], v[22:23], v[26:27]
	v_fma_f64 v[22:23], -v[20:21], v[22:23], v[28:29]
	v_fmac_f64_e32 v[26:27], v[20:21], v[24:25]
	v_fma_f64 v[28:29], -v[18:19], v[24:25], v[22:23]
	ds_write_b128 v12, v[26:29] offset:16
.LBB23_101:                             ;   in Loop: Header=BB23_99 Depth=2
	s_or_b64 exec, exec, s[8:9]
	v_add_u32_e32 v15, 2, v14
	v_cmp_gt_i32_e32 vcc, s31, v15
	s_and_saveexec_b64 s[8:9], vcc
	s_cbranch_execz .LBB23_103
; %bb.102:                              ;   in Loop: Header=BB23_99 Depth=2
	ds_read_b128 v[18:21], v13 offset:160
	ds_read_b128 v[22:25], v11 offset:16
	;; [unrolled: 1-line block ×3, first 2 shown]
	s_waitcnt lgkmcnt(0)
	v_fma_f64 v[26:27], -v[18:19], v[22:23], v[26:27]
	v_fma_f64 v[22:23], -v[20:21], v[22:23], v[28:29]
	v_fmac_f64_e32 v[26:27], v[20:21], v[24:25]
	v_fma_f64 v[28:29], -v[18:19], v[24:25], v[22:23]
	ds_write_b128 v12, v[26:29] offset:32
.LBB23_103:                             ;   in Loop: Header=BB23_99 Depth=2
	s_or_b64 exec, exec, s[8:9]
	v_add_u32_e32 v15, 3, v14
	v_cmp_gt_i32_e32 vcc, s31, v15
	s_and_saveexec_b64 s[8:9], vcc
	s_cbranch_execz .LBB23_105
; %bb.104:                              ;   in Loop: Header=BB23_99 Depth=2
	ds_read_b128 v[18:21], v13 offset:320
	ds_read_b128 v[22:25], v11 offset:32
	ds_read_b128 v[26:29], v12 offset:48
	s_waitcnt lgkmcnt(0)
	v_fma_f64 v[26:27], -v[18:19], v[22:23], v[26:27]
	v_fma_f64 v[22:23], -v[20:21], v[22:23], v[28:29]
	v_fmac_f64_e32 v[26:27], v[20:21], v[24:25]
	v_fma_f64 v[28:29], -v[18:19], v[24:25], v[22:23]
	ds_write_b128 v12, v[26:29] offset:48
.LBB23_105:                             ;   in Loop: Header=BB23_99 Depth=2
	s_or_b64 exec, exec, s[8:9]
	v_add_u32_e32 v14, 4, v14
	v_cmp_gt_i32_e32 vcc, s31, v14
	s_and_saveexec_b64 s[8:9], vcc
	s_cbranch_execz .LBB23_98
; %bb.106:                              ;   in Loop: Header=BB23_99 Depth=2
	ds_read_b128 v[18:21], v13 offset:480
	ds_read_b128 v[22:25], v11 offset:48
	;; [unrolled: 1-line block ×3, first 2 shown]
	s_waitcnt lgkmcnt(0)
	v_fma_f64 v[26:27], -v[18:19], v[22:23], v[26:27]
	v_fma_f64 v[14:15], -v[20:21], v[22:23], v[28:29]
	v_fmac_f64_e32 v[26:27], v[20:21], v[24:25]
	v_fma_f64 v[28:29], -v[18:19], v[24:25], v[14:15]
	ds_write_b128 v12, v[26:29] offset:64
	s_branch .LBB23_98
.LBB23_107:                             ;   in Loop: Header=BB23_93 Depth=1
	s_andn2_b64 vcc, exec, s[6:7]
	s_cbranch_vccnz .LBB23_112
; %bb.108:                              ;   in Loop: Header=BB23_93 Depth=1
	s_mul_i32 s9, s8, 0xa0
	v_add_u32_e32 v11, s9, v7
	s_lshl_b32 s9, s8, 4
	v_add_u32_e32 v12, s9, v8
	v_add_u32_e32 v13, s9, v6
	;; [unrolled: 1-line block ×3, first 2 shown]
	s_mov_b32 s13, s11
	s_branch .LBB23_110
.LBB23_109:                             ;   in Loop: Header=BB23_110 Depth=2
	s_or_b64 exec, exec, s[8:9]
	s_add_i32 s13, s13, -1
	v_add_u32_e32 v11, 0xa0, v11
	v_add_u32_e32 v12, 16, v12
	;; [unrolled: 1-line block ×3, first 2 shown]
	s_cmp_lg_u32 s13, 0
	v_add_u32_e32 v14, 1, v14
	s_cbranch_scc0 .LBB23_112
.LBB23_110:                             ;   Parent Loop BB23_93 Depth=1
                                        ; =>  This Inner Loop Header: Depth=2
	v_cmp_gt_i32_e32 vcc, s31, v14
	s_and_saveexec_b64 s[8:9], vcc
	s_cbranch_execz .LBB23_109
; %bb.111:                              ;   in Loop: Header=BB23_110 Depth=2
	ds_read_b128 v[18:21], v11
	ds_read_b128 v[22:25], v13
	;; [unrolled: 1-line block ×3, first 2 shown]
	s_waitcnt lgkmcnt(0)
	v_fma_f64 v[26:27], -v[18:19], v[22:23], v[26:27]
	v_fma_f64 v[22:23], -v[20:21], v[22:23], v[28:29]
	v_fmac_f64_e32 v[26:27], v[20:21], v[24:25]
	v_fma_f64 v[28:29], -v[18:19], v[24:25], v[22:23]
	ds_write_b128 v12, v[26:29]
	s_branch .LBB23_109
.LBB23_112:                             ;   in Loop: Header=BB23_93 Depth=1
	s_waitcnt lgkmcnt(0)
	s_and_saveexec_b64 s[8:9], s[0:1]
	s_cbranch_execz .LBB23_92
; %bb.113:                              ;   in Loop: Header=BB23_93 Depth=1
	ds_read2_b64 v[12:15], v3 offset1:1
	v_mad_u64_u32 v[10:11], s[14:15], v10, s31, v[2:3]
	v_mov_b32_e32 v11, v9
	v_lshl_add_u64 v[10:11], v[10:11], 4, s[20:21]
	s_waitcnt lgkmcnt(0)
	global_store_dwordx4 v[10:11], v[12:15], off
	s_branch .LBB23_92
.LBB23_114:
	v_and_b32_e32 v0, 0xfffff, v0
	v_cmp_eq_u32_e32 vcc, 0, v0
	s_and_saveexec_b64 s[0:1], vcc
	s_cbranch_execz .LBB23_118
; %bb.115:
	s_add_u32 s0, s28, s36
	s_addc_u32 s1, s29, s37
	v_mov_b32_e32 v0, 0
	v_mov_b32_e32 v1, 1
	buffer_wbl2 sc1
	s_waitcnt vmcnt(0) lgkmcnt(0)
	global_store_dword v0, v1, s[0:1] sc1
	s_and_b64 exec, exec, s[38:39]
	s_cbranch_execz .LBB23_118
; %bb.116:
	v_mbcnt_lo_u32_b32 v0, exec_lo, 0
	v_mbcnt_hi_u32_b32 v0, exec_hi, v0
	v_cmp_eq_u32_e32 vcc, 0, v0
	s_and_b64 exec, exec, vcc
	s_cbranch_execz .LBB23_118
; %bb.117:
	s_add_i32 s0, s30, s34
	v_mov_b32_e32 v0, 0
	v_mov_b32_e32 v1, s0
	global_atomic_smin v0, v1, s[26:27]
.LBB23_118:
	s_endpgm
	.section	.rodata,"a",@progbits
	.p2align	6, 0x0
	.amdhsa_kernel _ZN9rocsparseL11bsrilu0_2_8ILj64ELj64ELj8E21rocsparse_complex_numIdEEEv20rocsparse_direction_iPKiS5_PT2_S5_iPiS5_S8_21rocsparse_index_base_imNS_24const_host_device_scalarIfEENSA_IdEENSA_IS6_EEb
		.amdhsa_group_segment_fixed_size 2304
		.amdhsa_private_segment_fixed_size 48
		.amdhsa_kernarg_size 384
		.amdhsa_user_sgpr_count 2
		.amdhsa_user_sgpr_dispatch_ptr 0
		.amdhsa_user_sgpr_queue_ptr 0
		.amdhsa_user_sgpr_kernarg_segment_ptr 1
		.amdhsa_user_sgpr_dispatch_id 0
		.amdhsa_user_sgpr_kernarg_preload_length 0
		.amdhsa_user_sgpr_kernarg_preload_offset 0
		.amdhsa_user_sgpr_private_segment_size 0
		.amdhsa_uses_dynamic_stack 0
		.amdhsa_enable_private_segment 1
		.amdhsa_system_sgpr_workgroup_id_x 1
		.amdhsa_system_sgpr_workgroup_id_y 0
		.amdhsa_system_sgpr_workgroup_id_z 0
		.amdhsa_system_sgpr_workgroup_info 0
		.amdhsa_system_vgpr_workitem_id 1
		.amdhsa_next_free_vgpr 42
		.amdhsa_next_free_sgpr 57
		.amdhsa_accum_offset 44
		.amdhsa_reserve_vcc 1
		.amdhsa_float_round_mode_32 0
		.amdhsa_float_round_mode_16_64 0
		.amdhsa_float_denorm_mode_32 3
		.amdhsa_float_denorm_mode_16_64 3
		.amdhsa_dx10_clamp 1
		.amdhsa_ieee_mode 1
		.amdhsa_fp16_overflow 0
		.amdhsa_tg_split 0
		.amdhsa_exception_fp_ieee_invalid_op 0
		.amdhsa_exception_fp_denorm_src 0
		.amdhsa_exception_fp_ieee_div_zero 0
		.amdhsa_exception_fp_ieee_overflow 0
		.amdhsa_exception_fp_ieee_underflow 0
		.amdhsa_exception_fp_ieee_inexact 0
		.amdhsa_exception_int_div_zero 0
	.end_amdhsa_kernel
	.section	.text._ZN9rocsparseL11bsrilu0_2_8ILj64ELj64ELj8E21rocsparse_complex_numIdEEEv20rocsparse_direction_iPKiS5_PT2_S5_iPiS5_S8_21rocsparse_index_base_imNS_24const_host_device_scalarIfEENSA_IdEENSA_IS6_EEb,"axG",@progbits,_ZN9rocsparseL11bsrilu0_2_8ILj64ELj64ELj8E21rocsparse_complex_numIdEEEv20rocsparse_direction_iPKiS5_PT2_S5_iPiS5_S8_21rocsparse_index_base_imNS_24const_host_device_scalarIfEENSA_IdEENSA_IS6_EEb,comdat
.Lfunc_end23:
	.size	_ZN9rocsparseL11bsrilu0_2_8ILj64ELj64ELj8E21rocsparse_complex_numIdEEEv20rocsparse_direction_iPKiS5_PT2_S5_iPiS5_S8_21rocsparse_index_base_imNS_24const_host_device_scalarIfEENSA_IdEENSA_IS6_EEb, .Lfunc_end23-_ZN9rocsparseL11bsrilu0_2_8ILj64ELj64ELj8E21rocsparse_complex_numIdEEEv20rocsparse_direction_iPKiS5_PT2_S5_iPiS5_S8_21rocsparse_index_base_imNS_24const_host_device_scalarIfEENSA_IdEENSA_IS6_EEb
                                        ; -- End function
	.set _ZN9rocsparseL11bsrilu0_2_8ILj64ELj64ELj8E21rocsparse_complex_numIdEEEv20rocsparse_direction_iPKiS5_PT2_S5_iPiS5_S8_21rocsparse_index_base_imNS_24const_host_device_scalarIfEENSA_IdEENSA_IS6_EEb.num_vgpr, 42
	.set _ZN9rocsparseL11bsrilu0_2_8ILj64ELj64ELj8E21rocsparse_complex_numIdEEEv20rocsparse_direction_iPKiS5_PT2_S5_iPiS5_S8_21rocsparse_index_base_imNS_24const_host_device_scalarIfEENSA_IdEENSA_IS6_EEb.num_agpr, 0
	.set _ZN9rocsparseL11bsrilu0_2_8ILj64ELj64ELj8E21rocsparse_complex_numIdEEEv20rocsparse_direction_iPKiS5_PT2_S5_iPiS5_S8_21rocsparse_index_base_imNS_24const_host_device_scalarIfEENSA_IdEENSA_IS6_EEb.numbered_sgpr, 57
	.set _ZN9rocsparseL11bsrilu0_2_8ILj64ELj64ELj8E21rocsparse_complex_numIdEEEv20rocsparse_direction_iPKiS5_PT2_S5_iPiS5_S8_21rocsparse_index_base_imNS_24const_host_device_scalarIfEENSA_IdEENSA_IS6_EEb.num_named_barrier, 0
	.set _ZN9rocsparseL11bsrilu0_2_8ILj64ELj64ELj8E21rocsparse_complex_numIdEEEv20rocsparse_direction_iPKiS5_PT2_S5_iPiS5_S8_21rocsparse_index_base_imNS_24const_host_device_scalarIfEENSA_IdEENSA_IS6_EEb.private_seg_size, 48
	.set _ZN9rocsparseL11bsrilu0_2_8ILj64ELj64ELj8E21rocsparse_complex_numIdEEEv20rocsparse_direction_iPKiS5_PT2_S5_iPiS5_S8_21rocsparse_index_base_imNS_24const_host_device_scalarIfEENSA_IdEENSA_IS6_EEb.uses_vcc, 1
	.set _ZN9rocsparseL11bsrilu0_2_8ILj64ELj64ELj8E21rocsparse_complex_numIdEEEv20rocsparse_direction_iPKiS5_PT2_S5_iPiS5_S8_21rocsparse_index_base_imNS_24const_host_device_scalarIfEENSA_IdEENSA_IS6_EEb.uses_flat_scratch, 0
	.set _ZN9rocsparseL11bsrilu0_2_8ILj64ELj64ELj8E21rocsparse_complex_numIdEEEv20rocsparse_direction_iPKiS5_PT2_S5_iPiS5_S8_21rocsparse_index_base_imNS_24const_host_device_scalarIfEENSA_IdEENSA_IS6_EEb.has_dyn_sized_stack, 0
	.set _ZN9rocsparseL11bsrilu0_2_8ILj64ELj64ELj8E21rocsparse_complex_numIdEEEv20rocsparse_direction_iPKiS5_PT2_S5_iPiS5_S8_21rocsparse_index_base_imNS_24const_host_device_scalarIfEENSA_IdEENSA_IS6_EEb.has_recursion, 0
	.set _ZN9rocsparseL11bsrilu0_2_8ILj64ELj64ELj8E21rocsparse_complex_numIdEEEv20rocsparse_direction_iPKiS5_PT2_S5_iPiS5_S8_21rocsparse_index_base_imNS_24const_host_device_scalarIfEENSA_IdEENSA_IS6_EEb.has_indirect_call, 0
	.section	.AMDGPU.csdata,"",@progbits
; Kernel info:
; codeLenInByte = 4932
; TotalNumSgprs: 63
; NumVgprs: 42
; NumAgprs: 0
; TotalNumVgprs: 42
; ScratchSize: 48
; MemoryBound: 0
; FloatMode: 240
; IeeeMode: 1
; LDSByteSize: 2304 bytes/workgroup (compile time only)
; SGPRBlocks: 7
; VGPRBlocks: 5
; NumSGPRsForWavesPerEU: 63
; NumVGPRsForWavesPerEU: 42
; AccumOffset: 44
; Occupancy: 8
; WaveLimiterHint : 1
; COMPUTE_PGM_RSRC2:SCRATCH_EN: 1
; COMPUTE_PGM_RSRC2:USER_SGPR: 2
; COMPUTE_PGM_RSRC2:TRAP_HANDLER: 0
; COMPUTE_PGM_RSRC2:TGID_X_EN: 1
; COMPUTE_PGM_RSRC2:TGID_Y_EN: 0
; COMPUTE_PGM_RSRC2:TGID_Z_EN: 0
; COMPUTE_PGM_RSRC2:TIDIG_COMP_CNT: 1
; COMPUTE_PGM_RSRC3_GFX90A:ACCUM_OFFSET: 10
; COMPUTE_PGM_RSRC3_GFX90A:TG_SPLIT: 0
	.section	.text._ZN9rocsparseL12bsrilu0_9_32ILj64ELj64ELj16E21rocsparse_complex_numIdEEEv20rocsparse_direction_iPKiS5_PT2_S5_iPiS5_S8_21rocsparse_index_base_imNS_24const_host_device_scalarIfEENSA_IdEENSA_IS6_EEb,"axG",@progbits,_ZN9rocsparseL12bsrilu0_9_32ILj64ELj64ELj16E21rocsparse_complex_numIdEEEv20rocsparse_direction_iPKiS5_PT2_S5_iPiS5_S8_21rocsparse_index_base_imNS_24const_host_device_scalarIfEENSA_IdEENSA_IS6_EEb,comdat
	.globl	_ZN9rocsparseL12bsrilu0_9_32ILj64ELj64ELj16E21rocsparse_complex_numIdEEEv20rocsparse_direction_iPKiS5_PT2_S5_iPiS5_S8_21rocsparse_index_base_imNS_24const_host_device_scalarIfEENSA_IdEENSA_IS6_EEb ; -- Begin function _ZN9rocsparseL12bsrilu0_9_32ILj64ELj64ELj16E21rocsparse_complex_numIdEEEv20rocsparse_direction_iPKiS5_PT2_S5_iPiS5_S8_21rocsparse_index_base_imNS_24const_host_device_scalarIfEENSA_IdEENSA_IS6_EEb
	.p2align	8
	.type	_ZN9rocsparseL12bsrilu0_9_32ILj64ELj64ELj16E21rocsparse_complex_numIdEEEv20rocsparse_direction_iPKiS5_PT2_S5_iPiS5_S8_21rocsparse_index_base_imNS_24const_host_device_scalarIfEENSA_IdEENSA_IS6_EEb,@function
_ZN9rocsparseL12bsrilu0_9_32ILj64ELj64ELj16E21rocsparse_complex_numIdEEEv20rocsparse_direction_iPKiS5_PT2_S5_iPiS5_S8_21rocsparse_index_base_imNS_24const_host_device_scalarIfEENSA_IdEENSA_IS6_EEb: ; @_ZN9rocsparseL12bsrilu0_9_32ILj64ELj64ELj16E21rocsparse_complex_numIdEEEv20rocsparse_direction_iPKiS5_PT2_S5_iPiS5_S8_21rocsparse_index_base_imNS_24const_host_device_scalarIfEENSA_IdEENSA_IS6_EEb
; %bb.0:
	s_load_dword s3, s[0:1], 0x78
	s_load_dwordx8 s[24:31], s[0:1], 0x50
	s_load_dwordx2 s[4:5], s[0:1], 0x70
	s_load_dwordx2 s[34:35], s[0:1], 0x48
	s_waitcnt lgkmcnt(0)
	s_bitcmp1_b32 s3, 0
	s_cselect_b64 s[6:7], -1, 0
	v_mov_b64_e32 v[2:3], s[30:31]
	s_cmp_eq_u32 s35, 0
	s_cselect_b64 s[14:15], -1, 0
	s_cmp_lg_u32 s35, 0
	s_cselect_b64 s[8:9], -1, 0
	s_or_b64 s[16:17], s[14:15], s[6:7]
	s_xor_b64 s[10:11], s[16:17], -1
	s_and_b64 s[12:13], s[14:15], exec
	s_cselect_b32 s13, 0, s29
	s_cselect_b32 s12, 0, s28
	s_and_b64 vcc, exec, s[16:17]
	scratch_store_dwordx2 off, v[2:3], off offset:32
	s_cbranch_vccnz .LBB24_2
; %bb.1:
	s_load_dword s3, s[26:27], 0x0
	s_mov_b64 s[12:13], s[28:29]
	s_waitcnt lgkmcnt(0)
	v_mov_b32_e32 v1, s3
	s_andn2_b64 vcc, exec, s[10:11]
	v_mov_b64_e32 v[10:11], s[12:13]
	s_cbranch_vccz .LBB24_3
	s_branch .LBB24_4
.LBB24_2:
	v_mov_b32_e32 v1, s26
	v_cndmask_b32_e64 v1, v1, 0, s[14:15]
	s_andn2_b64 vcc, exec, s[10:11]
	v_mov_b64_e32 v[10:11], s[12:13]
	s_cbranch_vccnz .LBB24_4
.LBB24_3:
	v_mov_b64_e32 v[2:3], s[28:29]
	flat_load_dwordx2 v[10:11], v[2:3]
.LBB24_4:
	v_cndmask_b32_e64 v4, 0, 1, s[8:9]
	v_mov_b64_e32 v[2:3], 0
	v_cmp_ne_u32_e64 s[14:15], 1, v4
	s_andn2_b64 vcc, exec, s[8:9]
	v_mov_b64_e32 v[4:5], 0
	s_cbranch_vccnz .LBB24_7
; %bb.5:
	s_xor_b64 s[10:11], s[6:7], -1
	s_mov_b64 s[8:9], src_private_base
	s_and_b64 s[6:7], s[6:7], exec
	s_cselect_b32 s3, s9, s31
	s_cselect_b32 s6, 32, s30
	v_mov_b32_e32 v2, s6
	v_mov_b32_e32 v3, s3
	flat_load_dwordx2 v[2:3], v[2:3]
	s_andn2_b64 vcc, exec, s[10:11]
	v_mov_b64_e32 v[4:5], s[4:5]
	s_cbranch_vccnz .LBB24_7
; %bb.6:
	v_mov_b64_e32 v[4:5], s[30:31]
	flat_load_dwordx2 v[4:5], v[4:5] offset:8
.LBB24_7:
	s_load_dwordx4 s[28:31], s[0:1], 0x30
	s_load_dwordx2 s[26:27], s[0:1], 0x40
	s_mov_b32 s3, 0
	s_lshl_b64 s[2:3], s[2:3], 2
	s_waitcnt lgkmcnt(0)
	s_add_u32 s2, s30, s2
	s_addc_u32 s3, s31, s3
	s_load_dword s30, s[2:3], 0x0
	s_load_dwordx8 s[16:23], s[0:1], 0x8
	s_waitcnt vmcnt(0)
	scratch_store_dwordx4 off, v[2:5], off
	s_waitcnt lgkmcnt(0)
	s_ashr_i32 s31, s30, 31
	s_lshl_b64 s[36:37], s[30:31], 2
	s_add_u32 s2, s22, s36
	s_addc_u32 s3, s23, s37
	s_load_dword s38, s[2:3], 0x0
	s_waitcnt lgkmcnt(0)
	s_cmp_eq_u32 s38, -1
	s_cbranch_scc1 .LBB24_104
; %bb.8:
	s_add_u32 s2, s16, s36
	s_addc_u32 s3, s17, s37
	s_load_dwordx2 s[4:5], s[2:3], 0x0
	s_load_dwordx2 s[40:41], s[0:1], 0x0
	s_load_dword s31, s[0:1], 0x28
	s_mov_b64 s[42:43], 0
	s_waitcnt lgkmcnt(0)
	s_sub_i32 s44, s4, s34
	s_sub_i32 s33, s5, s34
	s_cmp_ge_i32 s44, s38
	s_cbranch_scc1 .LBB24_93
; %bb.9:
	v_bfe_u32 v19, v0, 10, 10
	v_and_b32_e32 v18, 0x3ff, v0
	v_lshlrev_b32_e32 v2, 4, v19
	v_add3_u32 v12, v2, v18, s44
	s_mul_i32 s0, s31, s44
	v_ashrrev_i32_e32 v13, 31, v12
	v_add_u32_e32 v2, s0, v18
	s_cmp_lg_u32 s40, 0
	v_lshl_add_u64 v[14:15], v[12:13], 2, s[18:19]
	v_mul_lo_u32 v13, s31, v2
	s_movk_i32 s0, 0x110
	v_lshlrev_b32_e32 v2, 4, v18
	s_cselect_b64 s[46:47], -1, 0
	s_cmp_gt_i32 s31, 0
	v_mad_u32_u24 v22, v19, s0, v2
	v_add_u32_e32 v26, 0x1100, v2
	v_mbcnt_lo_u32_b32 v2, -1, 0
	v_cmp_gt_i32_e64 s[2:3], s31, v18
	v_cmp_le_i32_e64 s[4:5], s31, v18
	v_cmp_gt_i32_e64 s[6:7], s31, v19
	s_cselect_b64 s[48:49], -1, 0
	v_cmp_eq_u32_e64 s[8:9], 0, v19
	v_add_u32_e32 v20, 1, v19
	v_cmp_gt_i32_e64 s[10:11], s33, v12
	s_add_i32 s35, s41, 1
	s_mul_i32 s39, s31, s31
	s_lshl_b32 s41, s31, 4
	v_mul_u32_u24_e32 v21, 0x110, v19
	v_add_u32_e32 v23, 0x1100, v22
	v_add_u32_e32 v24, 0x1210, v22
	v_mad_u32_u24 v25, v19, s0, s0
	v_mov_b32_e32 v27, 0
	v_mbcnt_hi_u32_b32 v28, -1, v2
	s_branch .LBB24_12
.LBB24_10:                              ;   in Loop: Header=BB24_12 Depth=1
	s_mov_b64 s[42:43], -1
.LBB24_11:                              ;   in Loop: Header=BB24_12 Depth=1
	s_add_i32 s44, s44, 1
	s_cmp_lt_i32 s44, s38
	s_cselect_b64 s[0:1], -1, 0
	s_and_b64 s[0:1], s[12:13], s[0:1]
	v_add_u32_e32 v13, s39, v13
	s_and_b64 vcc, exec, s[0:1]
	s_cbranch_vccz .LBB24_93
.LBB24_12:                              ; =>This Loop Header: Depth=1
                                        ;     Child Loop BB24_15 Depth 2
                                        ;       Child Loop BB24_18 Depth 3
                                        ;     Child Loop BB24_24 Depth 2
                                        ;     Child Loop BB24_28 Depth 2
                                        ;       Child Loop BB24_31 Depth 3
                                        ;     Child Loop BB24_38 Depth 2
                                        ;       Child Loop BB24_41 Depth 3
                                        ;         Child Loop BB24_45 Depth 4
                                        ;     Child Loop BB24_49 Depth 2
                                        ;       Child Loop BB24_52 Depth 3
                                        ;     Child Loop BB24_61 Depth 2
                                        ;       Child Loop BB24_66 Depth 3
                                        ;       Child Loop BB24_75 Depth 3
                                        ;         Child Loop BB24_78 Depth 4
                                        ;       Child Loop BB24_84 Depth 3
                                        ;         Child Loop BB24_87 Depth 4
                                        ;           Child Loop BB24_88 Depth 5
	s_ashr_i32 s45, s44, 31
	s_lshl_b64 s[0:1], s[44:45], 2
	s_add_u32 s0, s18, s0
	s_addc_u32 s1, s19, s1
	global_load_dword v2, v27, s[0:1]
	s_waitcnt vmcnt(0)
	v_readfirstlane_b32 s45, v2
	s_and_saveexec_b64 s[0:1], s[2:3]
	s_cbranch_execz .LBB24_22
; %bb.13:                               ;   in Loop: Header=BB24_12 Depth=1
	s_mul_i32 s56, s44, s31
	s_mov_b64 s[12:13], 0
	v_mov_b32_e32 v3, v23
	v_mov_b32_e32 v6, v13
	;; [unrolled: 1-line block ×3, first 2 shown]
	s_branch .LBB24_15
.LBB24_14:                              ;   in Loop: Header=BB24_15 Depth=2
	s_or_b64 exec, exec, s[50:51]
	v_add_u32_e32 v2, 16, v2
	v_cmp_le_i32_e32 vcc, s31, v2
	v_add_u32_e32 v6, s41, v6
	s_or_b64 s[12:13], vcc, s[12:13]
	v_add_u32_e32 v3, 0x100, v3
	s_andn2_b64 exec, exec, s[12:13]
	s_cbranch_execz .LBB24_22
.LBB24_15:                              ;   Parent Loop BB24_12 Depth=1
                                        ; =>  This Loop Header: Depth=2
                                        ;       Child Loop BB24_18 Depth 3
	s_and_saveexec_b64 s[50:51], s[6:7]
	s_cbranch_execz .LBB24_14
; %bb.16:                               ;   in Loop: Header=BB24_15 Depth=2
	s_mov_b64 s[52:53], 0
	v_mov_b32_e32 v7, v3
	v_mov_b32_e32 v8, v19
	s_branch .LBB24_18
.LBB24_17:                              ;   in Loop: Header=BB24_18 Depth=3
	v_ashrrev_i32_e32 v5, 31, v4
	v_lshl_add_u64 v[4:5], v[4:5], 4, s[20:21]
	global_load_dwordx4 v[30:33], v[4:5], off
	v_add_u32_e32 v8, 4, v8
	v_cmp_le_i32_e32 vcc, s31, v8
	s_or_b64 s[52:53], vcc, s[52:53]
	s_waitcnt vmcnt(0)
	ds_write2_b64 v7, v[30:31], v[32:33] offset1:1
	v_add_u32_e32 v7, 0x440, v7
	s_andn2_b64 exec, exec, s[52:53]
	s_cbranch_execz .LBB24_14
.LBB24_18:                              ;   Parent Loop BB24_12 Depth=1
                                        ;     Parent Loop BB24_15 Depth=2
                                        ; =>    This Inner Loop Header: Depth=3
	s_and_b64 vcc, exec, s[46:47]
	s_cbranch_vccz .LBB24_20
; %bb.19:                               ;   in Loop: Header=BB24_18 Depth=3
	v_add_u32_e32 v4, s56, v8
	v_mad_u64_u32 v[4:5], s[54:55], v4, s31, v[2:3]
	s_cbranch_execnz .LBB24_17
	s_branch .LBB24_21
.LBB24_20:                              ;   in Loop: Header=BB24_18 Depth=3
                                        ; implicit-def: $vgpr4
.LBB24_21:                              ;   in Loop: Header=BB24_18 Depth=3
	v_add_u32_e32 v4, v6, v8
	s_branch .LBB24_17
.LBB24_22:                              ;   in Loop: Header=BB24_12 Depth=1
	s_or_b64 exec, exec, s[0:1]
	s_sub_i32 s0, s45, s34
	s_ashr_i32 s1, s0, 31
	s_lshl_b64 s[0:1], s[0:1], 2
	s_add_u32 s12, s22, s0
	s_addc_u32 s13, s23, s1
	global_load_dword v2, v27, s[12:13]
	s_waitcnt vmcnt(0)
	v_cmp_eq_u32_e32 vcc, -1, v2
	v_readfirstlane_b32 s45, v2
	v_cmp_ne_u32_e64 s[12:13], -1, v2
	s_cbranch_vccnz .LBB24_10
; %bb.23:                               ;   in Loop: Header=BB24_12 Depth=1
	s_add_u32 s50, s16, s0
	s_addc_u32 s51, s17, s1
	global_load_dword v2, v27, s[50:51] offset:4
	s_add_u32 s0, s28, s0
	s_addc_u32 s1, s29, s1
	s_waitcnt vmcnt(0)
	v_readfirstlane_b32 s58, v2
.LBB24_24:                              ;   Parent Loop BB24_12 Depth=1
                                        ; =>  This Inner Loop Header: Depth=2
	global_load_dword v2, v27, s[0:1] sc1
	s_waitcnt vmcnt(0)
	v_cmp_eq_u32_e32 vcc, 0, v2
	s_cbranch_vccnz .LBB24_24
; %bb.25:                               ;   in Loop: Header=BB24_12 Depth=1
	s_waitcnt lgkmcnt(0)
	buffer_inv sc1
	s_and_saveexec_b64 s[0:1], s[2:3]
	s_cbranch_execz .LBB24_35
; %bb.26:                               ;   in Loop: Header=BB24_12 Depth=1
	s_mul_i32 s59, s45, s31
	v_add_u32_e32 v2, s59, v18
	v_mul_lo_u32 v3, s31, v2
	s_mov_b64 s[50:51], 0
	v_mov_b32_e32 v6, v22
	v_mov_b32_e32 v2, v18
	s_branch .LBB24_28
.LBB24_27:                              ;   in Loop: Header=BB24_28 Depth=2
	s_or_b64 exec, exec, s[52:53]
	v_add_u32_e32 v2, 16, v2
	v_cmp_le_i32_e32 vcc, s31, v2
	v_add_u32_e32 v3, s41, v3
	s_or_b64 s[50:51], vcc, s[50:51]
	v_add_u32_e32 v6, 0x100, v6
	s_andn2_b64 exec, exec, s[50:51]
	s_cbranch_execz .LBB24_35
.LBB24_28:                              ;   Parent Loop BB24_12 Depth=1
                                        ; =>  This Loop Header: Depth=2
                                        ;       Child Loop BB24_31 Depth 3
	s_and_saveexec_b64 s[52:53], s[6:7]
	s_cbranch_execz .LBB24_27
; %bb.29:                               ;   in Loop: Header=BB24_28 Depth=2
	s_mov_b64 s[54:55], 0
	v_mov_b32_e32 v7, v6
	v_mov_b32_e32 v8, v19
	s_branch .LBB24_31
.LBB24_30:                              ;   in Loop: Header=BB24_31 Depth=3
	v_ashrrev_i32_e32 v5, 31, v4
	v_lshl_add_u64 v[4:5], v[4:5], 4, s[20:21]
	global_load_dwordx4 v[30:33], v[4:5], off
	v_add_u32_e32 v8, 4, v8
	v_cmp_le_i32_e32 vcc, s31, v8
	s_or_b64 s[54:55], vcc, s[54:55]
	s_waitcnt vmcnt(0)
	ds_write2_b64 v7, v[30:31], v[32:33] offset1:1
	v_add_u32_e32 v7, 0x440, v7
	s_andn2_b64 exec, exec, s[54:55]
	s_cbranch_execz .LBB24_27
.LBB24_31:                              ;   Parent Loop BB24_12 Depth=1
                                        ;     Parent Loop BB24_28 Depth=2
                                        ; =>    This Inner Loop Header: Depth=3
	s_and_b64 vcc, exec, s[46:47]
	s_cbranch_vccz .LBB24_33
; %bb.32:                               ;   in Loop: Header=BB24_31 Depth=3
	v_add_u32_e32 v4, s59, v8
	v_mad_u64_u32 v[4:5], s[56:57], v4, s31, v[2:3]
	s_cbranch_execnz .LBB24_30
	s_branch .LBB24_34
.LBB24_33:                              ;   in Loop: Header=BB24_31 Depth=3
                                        ; implicit-def: $vgpr4
.LBB24_34:                              ;   in Loop: Header=BB24_31 Depth=3
	v_add_u32_e32 v4, v3, v8
	s_branch .LBB24_30
.LBB24_35:                              ;   in Loop: Header=BB24_12 Depth=1
	s_or_b64 exec, exec, s[0:1]
	s_andn2_b64 vcc, exec, s[48:49]
	s_waitcnt lgkmcnt(0)
	s_cbranch_vccnz .LBB24_46
; %bb.36:                               ;   in Loop: Header=BB24_12 Depth=1
	s_mov_b32 s59, 0
	v_mov_b32_e32 v29, v25
	v_mov_b32_e32 v30, v24
	s_branch .LBB24_38
.LBB24_37:                              ;   in Loop: Header=BB24_38 Depth=2
	s_or_b64 exec, exec, s[50:51]
	s_add_i32 s59, s59, 1
	v_add_u32_e32 v30, 0x110, v30
	s_cmp_eq_u32 s59, s31
	v_add_u32_e32 v29, 0x120, v29
	s_waitcnt lgkmcnt(0)
	s_cbranch_scc1 .LBB24_46
.LBB24_38:                              ;   Parent Loop BB24_12 Depth=1
                                        ; =>  This Loop Header: Depth=2
                                        ;       Child Loop BB24_41 Depth 3
                                        ;         Child Loop BB24_45 Depth 4
	s_and_saveexec_b64 s[50:51], s[2:3]
	s_cbranch_execz .LBB24_37
; %bb.39:                               ;   in Loop: Header=BB24_38 Depth=2
	s_mul_i32 s60, s59, 0x110
	s_lshl_b32 s0, s59, 4
	s_add_i32 s0, s60, s0
	v_mov_b32_e32 v2, s0
	ds_read_b128 v[2:5], v2
	v_add_u32_e32 v31, s59, v20
	s_addk_i32 s60, 0x1100
	s_mov_b64 s[52:53], 0
	s_waitcnt lgkmcnt(0)
	v_mul_f64 v[6:7], v[4:5], v[4:5]
	v_fmac_f64_e32 v[6:7], v[2:3], v[2:3]
	v_div_scale_f64 v[8:9], s[0:1], v[6:7], v[6:7], 1.0
	v_rcp_f64_e32 v[16:17], v[8:9]
	v_div_scale_f64 v[32:33], vcc, 1.0, v[6:7], 1.0
	v_fma_f64 v[34:35], -v[8:9], v[16:17], 1.0
	v_fmac_f64_e32 v[16:17], v[16:17], v[34:35]
	v_fma_f64 v[34:35], -v[8:9], v[16:17], 1.0
	v_fmac_f64_e32 v[16:17], v[16:17], v[34:35]
	v_mul_f64 v[34:35], v[32:33], v[16:17]
	v_fma_f64 v[8:9], -v[8:9], v[34:35], v[32:33]
	v_div_fmas_f64 v[8:9], v[8:9], v[16:17], v[34:35]
	v_div_fixup_f64 v[16:17], v[8:9], v[6:7], 1.0
	v_cmp_gt_i32_e32 vcc, s31, v31
	v_mov_b32_e32 v32, v30
	v_mov_b32_e32 v33, v18
	s_branch .LBB24_41
.LBB24_40:                              ;   in Loop: Header=BB24_41 Depth=3
	s_or_b64 exec, exec, s[54:55]
	v_add_u32_e32 v33, 16, v33
	v_cmp_le_i32_e64 s[0:1], s31, v33
	s_or_b64 s[52:53], s[0:1], s[52:53]
	v_add_u32_e32 v32, 0x100, v32
	s_andn2_b64 exec, exec, s[52:53]
	s_cbranch_execz .LBB24_37
.LBB24_41:                              ;   Parent Loop BB24_12 Depth=1
                                        ;     Parent Loop BB24_38 Depth=2
                                        ; =>    This Loop Header: Depth=3
                                        ;         Child Loop BB24_45 Depth 4
	v_lshl_add_u32 v34, v33, 4, s60
	ds_read_b128 v[6:9], v34
	s_waitcnt lgkmcnt(0)
	v_mul_f64 v[36:37], v[4:5], v[8:9]
	v_mul_f64 v[38:39], v[4:5], -v[6:7]
	v_fmac_f64_e32 v[36:37], v[6:7], v[2:3]
	v_fmac_f64_e32 v[38:39], v[8:9], v[2:3]
	v_mul_f64 v[6:7], v[16:17], v[36:37]
	v_mul_f64 v[8:9], v[16:17], v[38:39]
	s_and_saveexec_b64 s[0:1], s[8:9]
; %bb.42:                               ;   in Loop: Header=BB24_41 Depth=3
	ds_write_b128 v34, v[6:9]
; %bb.43:                               ;   in Loop: Header=BB24_41 Depth=3
	s_or_b64 exec, exec, s[0:1]
	s_and_saveexec_b64 s[54:55], vcc
	s_cbranch_execz .LBB24_40
; %bb.44:                               ;   in Loop: Header=BB24_41 Depth=3
	s_mov_b64 s[56:57], 0
	v_mov_b32_e32 v34, v29
	v_mov_b32_e32 v35, v32
	;; [unrolled: 1-line block ×3, first 2 shown]
.LBB24_45:                              ;   Parent Loop BB24_12 Depth=1
                                        ;     Parent Loop BB24_38 Depth=2
                                        ;       Parent Loop BB24_41 Depth=3
                                        ; =>      This Inner Loop Header: Depth=4
	ds_read_b128 v[38:41], v34
	ds_read_b128 v[42:45], v35
	v_add_u32_e32 v36, 4, v36
	v_cmp_le_i32_e64 s[0:1], s31, v36
	s_or_b64 s[56:57], s[0:1], s[56:57]
	v_add_u32_e32 v34, 0x440, v34
	s_waitcnt lgkmcnt(0)
	v_fma_f64 v[42:43], -v[6:7], v[38:39], v[42:43]
	v_fma_f64 v[38:39], -v[8:9], v[38:39], v[44:45]
	v_fmac_f64_e32 v[42:43], v[8:9], v[40:41]
	v_fma_f64 v[44:45], -v[6:7], v[40:41], v[38:39]
	ds_write_b128 v35, v[42:45]
	v_add_u32_e32 v35, 0x440, v35
	s_andn2_b64 exec, exec, s[56:57]
	s_cbranch_execnz .LBB24_45
	s_branch .LBB24_40
.LBB24_46:                              ;   in Loop: Header=BB24_12 Depth=1
	s_and_saveexec_b64 s[0:1], s[2:3]
	s_cbranch_execz .LBB24_56
; %bb.47:                               ;   in Loop: Header=BB24_12 Depth=1
	s_mul_i32 s59, s44, s31
	s_mov_b64 s[50:51], 0
	v_mov_b32_e32 v3, v23
	v_mov_b32_e32 v6, v13
	;; [unrolled: 1-line block ×3, first 2 shown]
	s_branch .LBB24_49
.LBB24_48:                              ;   in Loop: Header=BB24_49 Depth=2
	s_or_b64 exec, exec, s[52:53]
	v_add_u32_e32 v2, 16, v2
	v_cmp_le_i32_e32 vcc, s31, v2
	v_add_u32_e32 v6, s41, v6
	s_or_b64 s[50:51], vcc, s[50:51]
	v_add_u32_e32 v3, 0x100, v3
	s_andn2_b64 exec, exec, s[50:51]
	s_cbranch_execz .LBB24_56
.LBB24_49:                              ;   Parent Loop BB24_12 Depth=1
                                        ; =>  This Loop Header: Depth=2
                                        ;       Child Loop BB24_52 Depth 3
	s_and_saveexec_b64 s[52:53], s[6:7]
	s_cbranch_execz .LBB24_48
; %bb.50:                               ;   in Loop: Header=BB24_49 Depth=2
	s_mov_b64 s[54:55], 0
	v_mov_b32_e32 v7, v3
	v_mov_b32_e32 v8, v19
	s_branch .LBB24_52
.LBB24_51:                              ;   in Loop: Header=BB24_52 Depth=3
	ds_read2_b64 v[30:33], v7 offset1:1
	v_add_u32_e32 v8, 4, v8
	v_ashrrev_i32_e32 v5, 31, v4
	v_cmp_le_i32_e32 vcc, s31, v8
	v_lshl_add_u64 v[4:5], v[4:5], 4, s[20:21]
	s_or_b64 s[54:55], vcc, s[54:55]
	v_add_u32_e32 v7, 0x440, v7
	s_waitcnt lgkmcnt(0)
	global_store_dwordx4 v[4:5], v[30:33], off
	s_andn2_b64 exec, exec, s[54:55]
	s_cbranch_execz .LBB24_48
.LBB24_52:                              ;   Parent Loop BB24_12 Depth=1
                                        ;     Parent Loop BB24_49 Depth=2
                                        ; =>    This Inner Loop Header: Depth=3
	s_and_b64 vcc, exec, s[46:47]
	s_cbranch_vccz .LBB24_54
; %bb.53:                               ;   in Loop: Header=BB24_52 Depth=3
	v_add_u32_e32 v4, s59, v8
	v_mad_u64_u32 v[4:5], s[56:57], v4, s31, v[2:3]
	s_cbranch_execnz .LBB24_51
	s_branch .LBB24_55
.LBB24_54:                              ;   in Loop: Header=BB24_52 Depth=3
                                        ; implicit-def: $vgpr4
.LBB24_55:                              ;   in Loop: Header=BB24_52 Depth=3
	v_add_u32_e32 v4, v6, v8
	s_branch .LBB24_51
.LBB24_56:                              ;   in Loop: Header=BB24_12 Depth=1
	s_or_b64 exec, exec, s[0:1]
	s_sub_i32 s60, s58, s34
	s_add_i32 s0, s45, 1
	s_cmp_ge_i32 s0, s60
	s_cbranch_scc1 .LBB24_11
; %bb.57:                               ;   in Loop: Header=BB24_12 Depth=1
	s_mul_i32 s1, s31, s0
	v_add_u32_e32 v2, s1, v18
	v_mul_lo_u32 v16, s31, v2
	s_branch .LBB24_61
.LBB24_58:                              ;   in Loop: Header=BB24_61 Depth=2
	s_or_b64 exec, exec, s[52:53]
.LBB24_59:                              ;   in Loop: Header=BB24_61 Depth=2
	s_or_b64 exec, exec, s[50:51]
.LBB24_60:                              ;   in Loop: Header=BB24_61 Depth=2
	s_add_i32 s0, s0, 1
	s_cmp_lt_i32 s0, s60
	v_add_u32_e32 v16, s39, v16
	s_waitcnt lgkmcnt(0)
	s_cbranch_scc0 .LBB24_11
.LBB24_61:                              ;   Parent Loop BB24_12 Depth=1
                                        ; =>  This Loop Header: Depth=2
                                        ;       Child Loop BB24_66 Depth 3
                                        ;       Child Loop BB24_75 Depth 3
                                        ;         Child Loop BB24_78 Depth 4
                                        ;       Child Loop BB24_84 Depth 3
                                        ;         Child Loop BB24_87 Depth 4
                                        ;           Child Loop BB24_88 Depth 5
	s_ashr_i32 s1, s0, 31
	s_lshl_b64 s[50:51], s[0:1], 2
	s_add_u32 s50, s18, s50
	s_addc_u32 s51, s19, s51
	global_load_dword v2, v27, s[50:51]
	v_mov_b32_e32 v3, s35
	s_and_saveexec_b64 s[50:51], s[10:11]
	s_cbranch_execz .LBB24_63
; %bb.62:                               ;   in Loop: Header=BB24_61 Depth=2
	global_load_dword v3, v[14:15], off
	s_waitcnt vmcnt(0)
	v_subrev_u32_e32 v3, s34, v3
.LBB24_63:                              ;   in Loop: Header=BB24_61 Depth=2
	s_or_b64 exec, exec, s[50:51]
	s_waitcnt vmcnt(0)
	v_subrev_u32_e32 v4, s34, v2
	v_cmp_lt_i32_e32 vcc, v3, v4
	v_mov_b32_e32 v5, v12
	s_and_saveexec_b64 s[50:51], vcc
	s_cbranch_execz .LBB24_69
; %bb.64:                               ;   in Loop: Header=BB24_61 Depth=2
	s_mov_b64 s[52:53], 0
	v_mov_b32_e32 v2, v12
	s_branch .LBB24_66
.LBB24_65:                              ;   in Loop: Header=BB24_66 Depth=3
	s_or_b64 exec, exec, s[54:55]
	v_cmp_ge_i32_e32 vcc, v3, v4
	s_or_b64 s[52:53], vcc, s[52:53]
	v_mov_b32_e32 v2, v5
	s_andn2_b64 exec, exec, s[52:53]
	s_cbranch_execz .LBB24_68
.LBB24_66:                              ;   Parent Loop BB24_12 Depth=1
                                        ;     Parent Loop BB24_61 Depth=2
                                        ; =>    This Inner Loop Header: Depth=3
	v_add_u32_e32 v5, 64, v2
	v_cmp_gt_i32_e32 vcc, s33, v5
	v_mov_b32_e32 v3, s35
	s_and_saveexec_b64 s[54:55], vcc
	s_cbranch_execz .LBB24_65
; %bb.67:                               ;   in Loop: Header=BB24_66 Depth=3
	v_ashrrev_i32_e32 v3, 31, v2
	v_lshl_add_u64 v[2:3], v[2:3], 2, s[18:19]
	global_load_dword v2, v[2:3], off offset:256
	s_waitcnt vmcnt(0)
	v_subrev_u32_e32 v3, s34, v2
	s_branch .LBB24_65
.LBB24_68:                              ;   in Loop: Header=BB24_61 Depth=2
	s_or_b64 exec, exec, s[52:53]
.LBB24_69:                              ;   in Loop: Header=BB24_61 Depth=2
	s_or_b64 exec, exec, s[50:51]
	v_cmp_eq_u32_e32 vcc, v3, v4
	s_cbranch_vccz .LBB24_60
; %bb.70:                               ;   in Loop: Header=BB24_61 Depth=2
	s_ff1_i32_b64 s1, vcc
	v_and_or_b32 v2, v28, 64, s1
	v_lshlrev_b32_e32 v2, 2, v2
	ds_bpermute_b32 v3, v2, v5
	s_and_saveexec_b64 s[50:51], s[4:5]
	s_xor_b64 s[50:51], exec, s[50:51]
	s_cbranch_execz .LBB24_72
; %bb.71:                               ;   in Loop: Header=BB24_61 Depth=2
	s_waitcnt lgkmcnt(0)
                                        ; implicit-def: $vgpr3
.LBB24_72:                              ;   in Loop: Header=BB24_61 Depth=2
	s_andn2_saveexec_b64 s[50:51], s[50:51]
	s_cbranch_execz .LBB24_59
; %bb.73:                               ;   in Loop: Header=BB24_61 Depth=2
	s_mul_i32 s1, s0, s31
	s_mov_b64 s[52:53], 0
	v_mov_b32_e32 v6, v22
	v_mov_b32_e32 v7, v16
	v_mov_b32_e32 v2, v18
	s_branch .LBB24_75
.LBB24_74:                              ;   in Loop: Header=BB24_75 Depth=3
	s_or_b64 exec, exec, s[54:55]
	v_add_u32_e32 v2, 16, v2
	v_cmp_le_i32_e32 vcc, s31, v2
	v_add_u32_e32 v7, s41, v7
	s_or_b64 s[52:53], vcc, s[52:53]
	v_add_u32_e32 v6, 0x100, v6
	s_andn2_b64 exec, exec, s[52:53]
	s_cbranch_execz .LBB24_82
.LBB24_75:                              ;   Parent Loop BB24_12 Depth=1
                                        ;     Parent Loop BB24_61 Depth=2
                                        ; =>    This Loop Header: Depth=3
                                        ;         Child Loop BB24_78 Depth 4
	s_and_saveexec_b64 s[54:55], s[6:7]
	s_cbranch_execz .LBB24_74
; %bb.76:                               ;   in Loop: Header=BB24_75 Depth=3
	s_mov_b64 s[56:57], 0
	v_mov_b32_e32 v8, v6
	v_mov_b32_e32 v9, v19
	s_branch .LBB24_78
.LBB24_77:                              ;   in Loop: Header=BB24_78 Depth=4
	v_ashrrev_i32_e32 v5, 31, v4
	v_lshl_add_u64 v[4:5], v[4:5], 4, s[20:21]
	global_load_dwordx4 v[30:33], v[4:5], off
	v_add_u32_e32 v9, 4, v9
	v_cmp_le_i32_e32 vcc, s31, v9
	s_or_b64 s[56:57], vcc, s[56:57]
	s_waitcnt vmcnt(0)
	ds_write2_b64 v8, v[30:31], v[32:33] offset1:1
	v_add_u32_e32 v8, 0x440, v8
	s_andn2_b64 exec, exec, s[56:57]
	s_cbranch_execz .LBB24_74
.LBB24_78:                              ;   Parent Loop BB24_12 Depth=1
                                        ;     Parent Loop BB24_61 Depth=2
                                        ;       Parent Loop BB24_75 Depth=3
                                        ; =>      This Inner Loop Header: Depth=4
	s_and_b64 vcc, exec, s[46:47]
	s_cbranch_vccz .LBB24_80
; %bb.79:                               ;   in Loop: Header=BB24_78 Depth=4
	v_add_u32_e32 v4, s1, v9
	s_waitcnt lgkmcnt(0)
	v_mad_u64_u32 v[4:5], s[58:59], v4, s31, v[2:3]
	s_cbranch_execnz .LBB24_77
	s_branch .LBB24_81
.LBB24_80:                              ;   in Loop: Header=BB24_78 Depth=4
                                        ; implicit-def: $vgpr4
.LBB24_81:                              ;   in Loop: Header=BB24_78 Depth=4
	v_add_u32_e32 v4, v7, v9
	s_branch .LBB24_77
.LBB24_82:                              ;   in Loop: Header=BB24_61 Depth=2
	s_or_b64 exec, exec, s[52:53]
	s_waitcnt lgkmcnt(0)
	v_mul_lo_u32 v3, v3, s31
	s_mov_b64 s[52:53], 0
	v_mov_b32_e32 v17, v26
	v_mov_b32_e32 v2, v18
	s_branch .LBB24_84
.LBB24_83:                              ;   in Loop: Header=BB24_84 Depth=3
	s_or_b64 exec, exec, s[54:55]
	v_add_u32_e32 v2, 16, v2
	v_cmp_le_i32_e32 vcc, s31, v2
	s_or_b64 s[52:53], vcc, s[52:53]
	v_add_u32_e32 v17, 0x100, v17
	s_andn2_b64 exec, exec, s[52:53]
	s_cbranch_execz .LBB24_58
.LBB24_84:                              ;   Parent Loop BB24_12 Depth=1
                                        ;     Parent Loop BB24_61 Depth=2
                                        ; =>    This Loop Header: Depth=3
                                        ;         Child Loop BB24_87 Depth 4
                                        ;           Child Loop BB24_88 Depth 5
	s_and_saveexec_b64 s[54:55], s[6:7]
	s_cbranch_execz .LBB24_83
; %bb.85:                               ;   in Loop: Header=BB24_84 Depth=3
	v_add_u32_e32 v4, v2, v3
	v_mul_lo_u32 v29, v4, s31
	s_mov_b64 s[56:57], 0
	v_mov_b32_e32 v30, v21
	v_mov_b32_e32 v31, v19
	s_branch .LBB24_87
.LBB24_86:                              ;   in Loop: Header=BB24_87 Depth=4
	v_ashrrev_i32_e32 v9, 31, v8
	v_lshl_add_u64 v[8:9], v[8:9], 4, s[20:21]
	global_load_dwordx4 v[32:35], v[8:9], off
	v_add_u32_e32 v31, 4, v31
	v_cmp_le_i32_e32 vcc, s31, v31
	s_or_b64 s[56:57], vcc, s[56:57]
	v_add_u32_e32 v30, 0x440, v30
	s_waitcnt vmcnt(0)
	v_add_f64 v[4:5], v[32:33], -v[4:5]
	v_add_f64 v[6:7], v[34:35], -v[6:7]
	global_store_dwordx4 v[8:9], v[4:7], off
	s_andn2_b64 exec, exec, s[56:57]
	s_cbranch_execz .LBB24_83
.LBB24_87:                              ;   Parent Loop BB24_12 Depth=1
                                        ;     Parent Loop BB24_61 Depth=2
                                        ;       Parent Loop BB24_84 Depth=3
                                        ; =>      This Loop Header: Depth=4
                                        ;           Child Loop BB24_88 Depth 5
	v_mov_b64_e32 v[4:5], 0
	v_mov_b32_e32 v8, v17
	v_mov_b32_e32 v9, v30
	s_mov_b32 s1, s31
	v_mov_b64_e32 v[6:7], 0
.LBB24_88:                              ;   Parent Loop BB24_12 Depth=1
                                        ;     Parent Loop BB24_61 Depth=2
                                        ;       Parent Loop BB24_84 Depth=3
                                        ;         Parent Loop BB24_87 Depth=4
                                        ; =>        This Inner Loop Header: Depth=5
	ds_read_b128 v[32:35], v8
	ds_read_b128 v[36:39], v9
	s_add_i32 s1, s1, -1
	v_add_u32_e32 v9, 16, v9
	v_add_u32_e32 v8, 0x110, v8
	s_cmp_eq_u32 s1, 0
	s_waitcnt lgkmcnt(0)
	v_fmac_f64_e32 v[4:5], v[32:33], v[36:37]
	v_fmac_f64_e32 v[6:7], v[34:35], v[36:37]
	v_fma_f64 v[4:5], -v[34:35], v[38:39], v[4:5]
	v_fmac_f64_e32 v[6:7], v[32:33], v[38:39]
	s_cbranch_scc0 .LBB24_88
; %bb.89:                               ;   in Loop: Header=BB24_87 Depth=4
	s_and_b64 vcc, exec, s[46:47]
	s_cbranch_vccz .LBB24_91
; %bb.90:                               ;   in Loop: Header=BB24_87 Depth=4
	v_add_u32_e32 v8, v31, v3
	v_mad_u64_u32 v[8:9], s[58:59], v8, s31, v[2:3]
	s_cbranch_execnz .LBB24_86
	s_branch .LBB24_92
.LBB24_91:                              ;   in Loop: Header=BB24_87 Depth=4
                                        ; implicit-def: $vgpr8
.LBB24_92:                              ;   in Loop: Header=BB24_87 Depth=4
	v_add_u32_e32 v8, v31, v29
	s_branch .LBB24_86
.LBB24_93:
	s_ashr_i32 s39, s38, 31
	s_lshl_b64 s[0:1], s[38:39], 2
	s_add_u32 s0, s18, s0
	s_addc_u32 s1, s19, s1
	v_mov_b32_e32 v2, 0
	global_load_dword v2, v2, s[0:1]
	s_waitcnt vmcnt(0)
	v_subrev_u32_e32 v2, s34, v2
	v_cmp_ne_u32_e32 vcc, s30, v2
	s_cbranch_vccnz .LBB24_105
; %bb.94:
	v_and_b32_e32 v6, 0x3ff, v0
	v_cmp_gt_i32_e64 s[2:3], s31, v6
	v_lshlrev_b32_e32 v7, 4, v6
	s_and_saveexec_b64 s[4:5], s[2:3]
	s_cbranch_execz .LBB24_106
; %bb.95:
	s_mul_i32 s18, s38, s31
	v_bfe_u32 v3, v0, 10, 10
	s_cmp_lg_u32 s40, 0
	v_add_u32_e32 v2, s18, v6
	s_movk_i32 s8, 0x110
	v_cmp_gt_u32_e64 s[0:1], s31, v3
	s_cselect_b64 s[6:7], -1, 0
	v_mul_lo_u32 v8, s31, v2
	s_lshl_b32 s19, s31, 4
	v_mad_u32_u24 v9, v3, s8, v7
	s_mov_b64 s[8:9], 0
	v_mov_b32_e32 v2, v6
	s_branch .LBB24_97
.LBB24_96:                              ;   in Loop: Header=BB24_97 Depth=1
	s_or_b64 exec, exec, s[10:11]
	v_add_u32_e32 v2, 16, v2
	v_cmp_le_i32_e32 vcc, s31, v2
	v_add_u32_e32 v8, s19, v8
	s_or_b64 s[8:9], vcc, s[8:9]
	v_add_u32_e32 v9, 0x100, v9
	s_andn2_b64 exec, exec, s[8:9]
	s_cbranch_execz .LBB24_106
.LBB24_97:                              ; =>This Loop Header: Depth=1
                                        ;     Child Loop BB24_100 Depth 2
	s_and_saveexec_b64 s[10:11], s[0:1]
	s_cbranch_execz .LBB24_96
; %bb.98:                               ;   in Loop: Header=BB24_97 Depth=1
	s_mov_b64 s[12:13], 0
	v_mov_b32_e32 v12, v9
	v_mov_b32_e32 v13, v3
	s_branch .LBB24_100
.LBB24_99:                              ;   in Loop: Header=BB24_100 Depth=2
	v_ashrrev_i32_e32 v5, 31, v4
	v_lshl_add_u64 v[4:5], v[4:5], 4, s[20:21]
	global_load_dwordx4 v[14:17], v[4:5], off
	v_add_u32_e32 v13, 4, v13
	v_cmp_le_i32_e32 vcc, s31, v13
	s_or_b64 s[12:13], vcc, s[12:13]
	s_waitcnt vmcnt(0)
	ds_write2_b64 v12, v[14:15], v[16:17] offset1:1
	v_add_u32_e32 v12, 0x440, v12
	s_andn2_b64 exec, exec, s[12:13]
	s_cbranch_execz .LBB24_96
.LBB24_100:                             ;   Parent Loop BB24_97 Depth=1
                                        ; =>  This Inner Loop Header: Depth=2
	s_and_b64 vcc, exec, s[6:7]
	s_cbranch_vccz .LBB24_102
; %bb.101:                              ;   in Loop: Header=BB24_100 Depth=2
	v_add_u32_e32 v4, s18, v13
	v_mad_u64_u32 v[4:5], s[16:17], v4, s31, v[2:3]
	s_cbranch_execnz .LBB24_99
	s_branch .LBB24_103
.LBB24_102:                             ;   in Loop: Header=BB24_100 Depth=2
                                        ; implicit-def: $vgpr4
.LBB24_103:                             ;   in Loop: Header=BB24_100 Depth=2
	v_add_u32_e32 v4, v8, v13
	s_branch .LBB24_99
.LBB24_104:
	s_mov_b64 s[16:17], -1
	s_branch .LBB24_196
.LBB24_105:
	s_mov_b64 s[16:17], s[42:43]
	s_add_i32 s35, s38, 1
	s_cmp_ge_i32 s35, s33
	s_cbranch_scc0 .LBB24_145
	s_branch .LBB24_196
.LBB24_106:
	s_or_b64 exec, exec, s[4:5]
	s_cmp_lt_i32 s31, 1
	s_waitcnt lgkmcnt(0)
	s_cbranch_scc1 .LBB24_134
; %bb.107:
	s_cmp_eq_u64 s[24:25], 8
	v_cvt_f64_f32_e32 v[2:3], v1
	s_cselect_b64 vcc, -1, 0
	v_bfe_u32 v1, v0, 10, 10
	v_cndmask_b32_e32 v8, v2, v10, vcc
	v_or_b32_e32 v2, v6, v1
	v_cmp_eq_u32_e64 s[4:5], 0, v2
	s_movk_i32 s35, 0x110
	v_mul_u32_u24_e32 v2, 0x110, v1
	s_movk_i32 s0, 0x120
	s_mov_b32 s10, 0
	v_cndmask_b32_e32 v9, v3, v11, vcc
	v_mov_b32_e32 v23, 0
	v_cmp_eq_u32_e64 s[6:7], 0, v1
	v_add3_u32 v16, v2, v7, s0
	v_mad_u32_u24 v17, v1, s35, s35
	s_mov_b64 s[8:9], 0
	s_brev_b32 s11, 8
	v_mov_b32_e32 v18, 0x260
	v_mov_b32_e32 v19, 0x100
	;; [unrolled: 1-line block ×5, first 2 shown]
                                        ; implicit-def: $sgpr16_sgpr17
	s_branch .LBB24_109
.LBB24_108:                             ;   in Loop: Header=BB24_109 Depth=1
	s_or_b64 exec, exec, s[0:1]
	v_cmp_eq_u32_e32 vcc, s31, v10
	s_or_b64 s[8:9], vcc, s[8:9]
	s_andn2_b64 s[0:1], s[16:17], exec
	s_and_b64 s[12:13], s[42:43], exec
	v_add_u32_e32 v16, 0x120, v16
	v_add_u32_e32 v17, 0x120, v17
	s_or_b64 s[16:17], s[0:1], s[12:13]
	v_mov_b32_e32 v23, v10
	s_andn2_b64 exec, exec, s[8:9]
	s_cbranch_execz .LBB24_133
.LBB24_109:                             ; =>This Loop Header: Depth=1
                                        ;     Child Loop BB24_126 Depth 2
                                        ;       Child Loop BB24_130 Depth 3
	v_mul_lo_u32 v24, v23, s35
	v_lshl_add_u32 v25, v23, 4, v24
	ds_read2_b64 v[2:5], v25 offset1:1
	s_mov_b64 s[0:1], -1
	s_and_b64 vcc, exec, s[14:15]
	s_mov_b64 s[18:19], 0
	s_waitcnt lgkmcnt(0)
	scratch_store_dwordx4 off, v[2:5], off offset:16
	s_cbranch_vccz .LBB24_113
; %bb.110:                              ;   in Loop: Header=BB24_109 Depth=1
	s_mov_b64 s[12:13], 0
	s_and_b64 vcc, exec, s[0:1]
	s_cbranch_vccnz .LBB24_122
.LBB24_111:                             ;   in Loop: Header=BB24_109 Depth=1
                                        ; implicit-def: $vgpr10
	s_and_saveexec_b64 s[0:1], s[18:19]
	s_xor_b64 s[18:19], exec, s[0:1]
	s_cbranch_execnz .LBB24_123
.LBB24_112:                             ;   in Loop: Header=BB24_109 Depth=1
	s_or_b64 exec, exec, s[18:19]
	s_and_saveexec_b64 s[0:1], s[12:13]
	s_cbranch_execz .LBB24_108
	s_branch .LBB24_132
.LBB24_113:                             ;   in Loop: Header=BB24_109 Depth=1
	v_xor_b32_e32 v10, 0x80000000, v3
	v_cmp_gt_f64_e32 vcc, 0, v[2:3]
	v_xor_b32_e32 v12, 0x80000000, v5
                                        ; implicit-def: $vgpr14_vgpr15
	s_nop 0
	v_cndmask_b32_e32 v11, v3, v10, vcc
	v_cmp_gt_f64_e32 vcc, 0, v[4:5]
	v_mov_b32_e32 v10, v2
	s_nop 0
	v_cndmask_b32_e32 v13, v5, v12, vcc
	v_mov_b32_e32 v12, v4
	v_cmp_ngt_f64_e32 vcc, v[10:11], v[12:13]
	s_and_saveexec_b64 s[0:1], vcc
	s_xor_b64 s[0:1], exec, s[0:1]
	s_cbranch_execz .LBB24_117
; %bb.114:                              ;   in Loop: Header=BB24_109 Depth=1
	v_mov_b64_e32 v[14:15], 0
	v_cmp_neq_f64_e32 vcc, 0, v[4:5]
	s_and_saveexec_b64 s[12:13], vcc
	s_cbranch_execz .LBB24_116
; %bb.115:                              ;   in Loop: Header=BB24_109 Depth=1
	v_div_scale_f64 v[14:15], s[18:19], v[12:13], v[12:13], v[10:11]
	v_rcp_f64_e32 v[26:27], v[14:15]
	v_div_scale_f64 v[28:29], vcc, v[10:11], v[12:13], v[10:11]
	v_fma_f64 v[30:31], -v[14:15], v[26:27], 1.0
	v_fmac_f64_e32 v[26:27], v[26:27], v[30:31]
	v_fma_f64 v[30:31], -v[14:15], v[26:27], 1.0
	v_fmac_f64_e32 v[26:27], v[26:27], v[30:31]
	v_mul_f64 v[30:31], v[28:29], v[26:27]
	v_fma_f64 v[14:15], -v[14:15], v[30:31], v[28:29]
	v_div_fmas_f64 v[14:15], v[14:15], v[26:27], v[30:31]
	v_div_fixup_f64 v[10:11], v[14:15], v[12:13], v[10:11]
	v_fma_f64 v[10:11], v[10:11], v[10:11], 1.0
	v_cmp_gt_f64_e32 vcc, s[10:11], v[10:11]
	s_nop 1
	v_cndmask_b32_e32 v14, 0, v19, vcc
	v_ldexp_f64 v[10:11], v[10:11], v14
	v_rsq_f64_e32 v[14:15], v[10:11]
	s_nop 0
	v_mul_f64 v[26:27], v[10:11], v[14:15]
	v_mul_f64 v[14:15], v[14:15], 0.5
	v_fma_f64 v[28:29], -v[14:15], v[26:27], 0.5
	v_fmac_f64_e32 v[26:27], v[26:27], v[28:29]
	v_fma_f64 v[30:31], -v[26:27], v[26:27], v[10:11]
	v_fmac_f64_e32 v[14:15], v[14:15], v[28:29]
	v_fmac_f64_e32 v[26:27], v[30:31], v[14:15]
	v_fma_f64 v[28:29], -v[26:27], v[26:27], v[10:11]
	v_fmac_f64_e32 v[26:27], v[28:29], v[14:15]
	v_cndmask_b32_e32 v14, 0, v20, vcc
	v_ldexp_f64 v[14:15], v[26:27], v14
	v_cmp_class_f64_e32 vcc, v[10:11], v18
	s_nop 1
	v_cndmask_b32_e32 v11, v15, v11, vcc
	v_cndmask_b32_e32 v10, v14, v10, vcc
	v_mul_f64 v[14:15], v[12:13], v[10:11]
.LBB24_116:                             ;   in Loop: Header=BB24_109 Depth=1
	s_or_b64 exec, exec, s[12:13]
                                        ; implicit-def: $vgpr10_vgpr11
                                        ; implicit-def: $vgpr12_vgpr13
.LBB24_117:                             ;   in Loop: Header=BB24_109 Depth=1
	s_andn2_saveexec_b64 s[0:1], s[0:1]
	s_cbranch_execz .LBB24_119
; %bb.118:                              ;   in Loop: Header=BB24_109 Depth=1
	v_div_scale_f64 v[14:15], s[12:13], v[10:11], v[10:11], v[12:13]
	v_rcp_f64_e32 v[26:27], v[14:15]
	v_div_scale_f64 v[28:29], vcc, v[12:13], v[10:11], v[12:13]
	v_fma_f64 v[30:31], -v[14:15], v[26:27], 1.0
	v_fmac_f64_e32 v[26:27], v[26:27], v[30:31]
	v_fma_f64 v[30:31], -v[14:15], v[26:27], 1.0
	v_fmac_f64_e32 v[26:27], v[26:27], v[30:31]
	v_mul_f64 v[30:31], v[28:29], v[26:27]
	v_fma_f64 v[14:15], -v[14:15], v[30:31], v[28:29]
	v_div_fmas_f64 v[14:15], v[14:15], v[26:27], v[30:31]
	v_div_fixup_f64 v[12:13], v[14:15], v[10:11], v[12:13]
	v_fma_f64 v[12:13], v[12:13], v[12:13], 1.0
	v_cmp_gt_f64_e32 vcc, s[10:11], v[12:13]
	s_nop 1
	v_cndmask_b32_e32 v14, 0, v19, vcc
	v_ldexp_f64 v[12:13], v[12:13], v14
	v_rsq_f64_e32 v[14:15], v[12:13]
	s_nop 0
	v_mul_f64 v[26:27], v[12:13], v[14:15]
	v_mul_f64 v[14:15], v[14:15], 0.5
	v_fma_f64 v[28:29], -v[14:15], v[26:27], 0.5
	v_fmac_f64_e32 v[26:27], v[26:27], v[28:29]
	v_fma_f64 v[30:31], -v[26:27], v[26:27], v[12:13]
	v_fmac_f64_e32 v[14:15], v[14:15], v[28:29]
	v_fmac_f64_e32 v[26:27], v[30:31], v[14:15]
	v_fma_f64 v[28:29], -v[26:27], v[26:27], v[12:13]
	v_fmac_f64_e32 v[26:27], v[28:29], v[14:15]
	v_cndmask_b32_e32 v14, 0, v20, vcc
	v_ldexp_f64 v[14:15], v[26:27], v14
	v_cmp_class_f64_e32 vcc, v[12:13], v18
	s_nop 1
	v_cndmask_b32_e32 v13, v15, v13, vcc
	v_cndmask_b32_e32 v12, v14, v12, vcc
	v_mul_f64 v[14:15], v[10:11], v[12:13]
.LBB24_119:                             ;   in Loop: Header=BB24_109 Depth=1
	s_or_b64 exec, exec, s[0:1]
	v_cmp_ge_f64_e32 vcc, v[8:9], v[14:15]
	s_nop 1
	v_cndmask_b32_e32 v10, v21, v22, vcc
	scratch_load_dwordx4 v[10:13], v10, off
	s_waitcnt vmcnt(0)
	scratch_store_dwordx4 off, v[10:13], off offset:16
	s_and_saveexec_b64 s[0:1], s[4:5]
	s_cbranch_execz .LBB24_121
; %bb.120:                              ;   in Loop: Header=BB24_109 Depth=1
	scratch_load_dwordx4 v[10:13], off, off offset:16
	s_waitcnt vmcnt(0)
	ds_write2_b64 v25, v[10:11], v[12:13] offset1:1
.LBB24_121:                             ;   in Loop: Header=BB24_109 Depth=1
	s_or_b64 exec, exec, s[0:1]
	s_mov_b64 s[18:19], -1
	s_mov_b64 s[12:13], 0
	s_branch .LBB24_111
.LBB24_122:                             ;   in Loop: Header=BB24_109 Depth=1
	v_cmp_neq_f64_e32 vcc, 0, v[2:3]
	v_cmp_neq_f64_e64 s[0:1], 0, v[4:5]
	s_or_b64 s[0:1], vcc, s[0:1]
	s_andn2_b64 s[18:19], s[18:19], exec
	s_and_b64 s[0:1], s[0:1], exec
	s_mov_b64 s[12:13], -1
	s_or_b64 s[18:19], s[18:19], s[0:1]
                                        ; implicit-def: $vgpr10
	s_and_saveexec_b64 s[0:1], s[18:19]
	s_xor_b64 s[18:19], exec, s[0:1]
	s_cbranch_execz .LBB24_112
.LBB24_123:                             ;   in Loop: Header=BB24_109 Depth=1
	v_add_u32_e32 v10, 1, v23
	v_add_u32_e32 v11, v10, v6
	v_cmp_gt_i32_e32 vcc, s31, v11
	s_and_saveexec_b64 s[22:23], vcc
	s_cbranch_execz .LBB24_131
; %bb.124:                              ;   in Loop: Header=BB24_109 Depth=1
	v_add_u32_e32 v12, v10, v1
	v_cmp_gt_i32_e64 s[0:1], s31, v12
	s_mov_b64 s[24:25], 0
	v_mov_b32_e32 v13, v16
	s_branch .LBB24_126
.LBB24_125:                             ;   in Loop: Header=BB24_126 Depth=2
	s_or_b64 exec, exec, s[44:45]
	v_add_u32_e32 v11, 16, v11
	v_cmp_le_i32_e32 vcc, s31, v11
	s_or_b64 s[24:25], vcc, s[24:25]
	v_add_u32_e32 v13, 0x100, v13
	s_andn2_b64 exec, exec, s[24:25]
	s_cbranch_execz .LBB24_131
.LBB24_126:                             ;   Parent Loop BB24_109 Depth=1
                                        ; =>  This Loop Header: Depth=2
                                        ;       Child Loop BB24_130 Depth 3
	scratch_load_dwordx4 v[2:5], off, off offset:16
	v_lshl_add_u32 v14, v11, 4, v24
	ds_read_b128 v[26:29], v14
	s_waitcnt vmcnt(0) lgkmcnt(0)
	v_mul_f64 v[30:31], v[4:5], v[4:5]
	v_mul_f64 v[32:33], v[28:29], v[4:5]
	v_fmac_f64_e32 v[30:31], v[2:3], v[2:3]
	v_mul_f64 v[4:5], v[4:5], -v[26:27]
	v_fmac_f64_e32 v[32:33], v[26:27], v[2:3]
	v_div_scale_f64 v[26:27], s[44:45], v[30:31], v[30:31], 1.0
	v_rcp_f64_e32 v[34:35], v[26:27]
	v_fmac_f64_e32 v[4:5], v[28:29], v[2:3]
	v_div_scale_f64 v[2:3], vcc, 1.0, v[30:31], 1.0
	v_fma_f64 v[28:29], -v[26:27], v[34:35], 1.0
	v_fmac_f64_e32 v[34:35], v[34:35], v[28:29]
	v_fma_f64 v[28:29], -v[26:27], v[34:35], 1.0
	v_fmac_f64_e32 v[34:35], v[34:35], v[28:29]
	v_mul_f64 v[28:29], v[2:3], v[34:35]
	v_fma_f64 v[2:3], -v[26:27], v[28:29], v[2:3]
	v_div_fmas_f64 v[2:3], v[2:3], v[34:35], v[28:29]
	v_div_fixup_f64 v[26:27], v[2:3], v[30:31], 1.0
	v_mul_f64 v[2:3], v[32:33], v[26:27]
	v_mul_f64 v[4:5], v[4:5], v[26:27]
	s_and_saveexec_b64 s[44:45], s[6:7]
; %bb.127:                              ;   in Loop: Header=BB24_126 Depth=2
	ds_write_b128 v14, v[2:5]
; %bb.128:                              ;   in Loop: Header=BB24_126 Depth=2
	s_or_b64 exec, exec, s[44:45]
	s_and_saveexec_b64 s[44:45], s[0:1]
	s_cbranch_execz .LBB24_125
; %bb.129:                              ;   in Loop: Header=BB24_126 Depth=2
	s_mov_b64 s[46:47], 0
	v_mov_b32_e32 v14, v17
	v_mov_b32_e32 v15, v13
	;; [unrolled: 1-line block ×3, first 2 shown]
.LBB24_130:                             ;   Parent Loop BB24_109 Depth=1
                                        ;     Parent Loop BB24_126 Depth=2
                                        ; =>    This Inner Loop Header: Depth=3
	ds_read_b128 v[26:29], v14
	ds_read_b128 v[30:33], v15
	v_add_u32_e32 v25, 4, v25
	v_cmp_le_i32_e32 vcc, s31, v25
	s_or_b64 s[46:47], vcc, s[46:47]
	v_add_u32_e32 v14, 0x440, v14
	s_waitcnt lgkmcnt(0)
	v_fma_f64 v[30:31], -v[2:3], v[26:27], v[30:31]
	v_fma_f64 v[26:27], -v[4:5], v[26:27], v[32:33]
	v_fmac_f64_e32 v[30:31], v[4:5], v[28:29]
	v_fma_f64 v[32:33], -v[2:3], v[28:29], v[26:27]
	ds_write_b128 v15, v[30:33]
	v_add_u32_e32 v15, 0x440, v15
	s_andn2_b64 exec, exec, s[46:47]
	s_cbranch_execnz .LBB24_130
	s_branch .LBB24_125
.LBB24_131:                             ;   in Loop: Header=BB24_109 Depth=1
	s_or_b64 exec, exec, s[22:23]
	s_andn2_b64 s[12:13], s[12:13], exec
	s_or_b64 exec, exec, s[18:19]
	s_and_saveexec_b64 s[0:1], s[12:13]
	s_cbranch_execz .LBB24_108
.LBB24_132:                             ;   in Loop: Header=BB24_109 Depth=1
	v_add_u32_e32 v10, 1, v23
	s_or_b64 s[42:43], s[42:43], exec
	s_branch .LBB24_108
.LBB24_133:
	s_or_b64 exec, exec, s[8:9]
	s_waitcnt lgkmcnt(0)
	s_and_saveexec_b64 s[4:5], s[2:3]
	s_cbranch_execnz .LBB24_135
	s_branch .LBB24_144
.LBB24_134:
	s_mov_b64 s[16:17], s[42:43]
	s_and_saveexec_b64 s[4:5], s[2:3]
	s_cbranch_execz .LBB24_144
.LBB24_135:
	s_mul_i32 s14, s38, s31
	v_bfe_u32 v1, v0, 10, 10
	s_cmp_lg_u32 s40, 0
	v_add_u32_e32 v2, s14, v6
	s_movk_i32 s6, 0x110
	v_cmp_gt_u32_e64 s[0:1], s31, v1
	s_cselect_b64 s[2:3], -1, 0
	v_mul_lo_u32 v4, s31, v2
	s_lshl_b32 s15, s31, 4
	v_mad_u32_u24 v5, v1, s6, v7
	s_mov_b64 s[6:7], 0
	s_branch .LBB24_137
.LBB24_136:                             ;   in Loop: Header=BB24_137 Depth=1
	s_or_b64 exec, exec, s[8:9]
	v_add_u32_e32 v6, 16, v6
	v_cmp_le_i32_e32 vcc, s31, v6
	v_add_u32_e32 v4, s15, v4
	s_or_b64 s[6:7], vcc, s[6:7]
	v_add_u32_e32 v5, 0x100, v5
	s_andn2_b64 exec, exec, s[6:7]
	s_cbranch_execz .LBB24_144
.LBB24_137:                             ; =>This Loop Header: Depth=1
                                        ;     Child Loop BB24_140 Depth 2
	s_and_saveexec_b64 s[8:9], s[0:1]
	s_cbranch_execz .LBB24_136
; %bb.138:                              ;   in Loop: Header=BB24_137 Depth=1
	s_mov_b64 s[10:11], 0
	v_mov_b32_e32 v7, v5
	v_mov_b32_e32 v8, v1
	s_branch .LBB24_140
.LBB24_139:                             ;   in Loop: Header=BB24_140 Depth=2
	ds_read2_b64 v[10:13], v7 offset1:1
	v_add_u32_e32 v8, 4, v8
	v_ashrrev_i32_e32 v3, 31, v2
	v_cmp_le_i32_e32 vcc, s31, v8
	v_lshl_add_u64 v[2:3], v[2:3], 4, s[20:21]
	s_or_b64 s[10:11], vcc, s[10:11]
	v_add_u32_e32 v7, 0x440, v7
	s_waitcnt lgkmcnt(0)
	global_store_dwordx4 v[2:3], v[10:13], off
	s_andn2_b64 exec, exec, s[10:11]
	s_cbranch_execz .LBB24_136
.LBB24_140:                             ;   Parent Loop BB24_137 Depth=1
                                        ; =>  This Inner Loop Header: Depth=2
	s_and_b64 vcc, exec, s[2:3]
	s_cbranch_vccz .LBB24_142
; %bb.141:                              ;   in Loop: Header=BB24_140 Depth=2
	v_add_u32_e32 v2, s14, v8
	v_mad_u64_u32 v[2:3], s[12:13], v2, s31, v[6:7]
	s_cbranch_execnz .LBB24_139
	s_branch .LBB24_143
.LBB24_142:                             ;   in Loop: Header=BB24_140 Depth=2
                                        ; implicit-def: $vgpr2
.LBB24_143:                             ;   in Loop: Header=BB24_140 Depth=2
	v_add_u32_e32 v2, v4, v8
	s_branch .LBB24_139
.LBB24_144:
	s_or_b64 exec, exec, s[4:5]
	s_add_i32 s35, s38, 1
	s_cmp_ge_i32 s35, s33
	s_cbranch_scc1 .LBB24_196
.LBB24_145:
	v_and_b32_e32 v1, 0x3ff, v0
	s_mul_i32 s12, s31, s35
	v_bfe_u32 v3, v0, 10, 10
	s_cmp_lg_u32 s40, 0
	v_add_u32_e32 v2, s12, v1
	s_cselect_b64 s[14:15], -1, 0
	s_cmp_gt_i32 s31, 0
	v_mul_lo_u32 v7, s31, v2
	v_mul_u32_u24_e32 v2, 0x110, v3
	v_lshlrev_b32_e32 v4, 4, v1
	s_movk_i32 s12, 0x1100
	s_cselect_b64 s[6:7], -1, 0
	s_cmp_lg_u32 s31, 1
	s_movk_i32 s45, 0x110
	v_add3_u32 v8, v2, v4, s12
	v_lshlrev_b32_e32 v2, 4, v3
	s_cselect_b64 s[8:9], -1, 0
	s_and_b32 s42, s31, 0x7ffffffe
	v_mad_u32_u24 v4, v1, s45, v2
	v_add_u32_e32 v10, 16, v2
	v_add_u32_e32 v11, 0x130, v2
	v_mov_b32_e32 v2, 0x1110
	s_bitcmp1_b32 s31, 0
	v_mad_u32_u24 v13, v1, s45, v2
	v_cndmask_b32_e64 v2, 0, 1, s[6:7]
	s_cselect_b64 s[10:11], -1, 0
	v_cmp_ne_u32_e64 s[6:7], 1, v2
	v_cndmask_b32_e64 v2, 0, 1, s[8:9]
	v_cmp_ne_u32_e64 s[8:9], 1, v2
	v_cndmask_b32_e64 v2, 0, 1, s[10:11]
	v_cmp_gt_i32_e64 s[0:1], s31, v1
	v_cmp_le_i32_e64 s[2:3], s31, v1
	v_cmp_gt_i32_e64 s[4:5], s31, v3
	v_add_u32_e32 v6, 1, v3
	s_mul_i32 s43, s31, s31
	s_lshl_b32 s44, s31, 4
	v_add_u32_e32 v9, 0x1110, v4
	v_add_u32_e32 v12, 0x1120, v4
	v_cmp_ne_u32_e64 s[10:11], 1, v2
	s_branch .LBB24_148
.LBB24_146:                             ;   in Loop: Header=BB24_148 Depth=1
	s_or_b64 exec, exec, s[18:19]
.LBB24_147:                             ;   in Loop: Header=BB24_148 Depth=1
	s_or_b64 exec, exec, s[12:13]
	s_add_i32 s35, s35, 1
	s_cmp_ge_i32 s35, s33
	v_add_u32_e32 v7, s43, v7
	s_cbranch_scc1 .LBB24_196
.LBB24_148:                             ; =>This Loop Header: Depth=1
                                        ;     Child Loop BB24_151 Depth 2
                                        ;       Child Loop BB24_154 Depth 3
                                        ;     Child Loop BB24_162 Depth 2
                                        ;       Child Loop BB24_165 Depth 3
                                        ;         Child Loop BB24_167 Depth 4
                                        ;       Child Loop BB24_170 Depth 3
                                        ;         Child Loop BB24_172 Depth 4
                                        ;     Child Loop BB24_179 Depth 2
                                        ;       Child Loop BB24_181 Depth 3
                                        ;     Child Loop BB24_189 Depth 2
                                        ;       Child Loop BB24_192 Depth 3
	s_waitcnt lgkmcnt(0)
	s_and_saveexec_b64 s[12:13], s[0:1]
	s_cbranch_execz .LBB24_158
; %bb.149:                              ;   in Loop: Header=BB24_148 Depth=1
	s_mul_i32 s40, s35, s31
	s_mov_b64 s[18:19], 0
	v_mov_b32_e32 v14, v8
	v_mov_b32_e32 v15, v7
	;; [unrolled: 1-line block ×3, first 2 shown]
	s_branch .LBB24_151
.LBB24_150:                             ;   in Loop: Header=BB24_151 Depth=2
	s_or_b64 exec, exec, s[22:23]
	v_add_u32_e32 v2, 16, v2
	v_cmp_le_i32_e32 vcc, s31, v2
	v_add_u32_e32 v15, s44, v15
	s_or_b64 s[18:19], vcc, s[18:19]
	v_add_u32_e32 v14, 0x100, v14
	s_andn2_b64 exec, exec, s[18:19]
	s_cbranch_execz .LBB24_158
.LBB24_151:                             ;   Parent Loop BB24_148 Depth=1
                                        ; =>  This Loop Header: Depth=2
                                        ;       Child Loop BB24_154 Depth 3
	s_and_saveexec_b64 s[22:23], s[4:5]
	s_cbranch_execz .LBB24_150
; %bb.152:                              ;   in Loop: Header=BB24_151 Depth=2
	s_mov_b64 s[24:25], 0
	v_mov_b32_e32 v16, v14
	v_mov_b32_e32 v17, v3
	s_branch .LBB24_154
.LBB24_153:                             ;   in Loop: Header=BB24_154 Depth=3
	v_ashrrev_i32_e32 v5, 31, v4
	v_lshl_add_u64 v[4:5], v[4:5], 4, s[20:21]
	global_load_dwordx4 v[18:21], v[4:5], off
	v_add_u32_e32 v17, 4, v17
	v_cmp_le_i32_e32 vcc, s31, v17
	s_or_b64 s[24:25], vcc, s[24:25]
	s_waitcnt vmcnt(0)
	ds_write2_b64 v16, v[18:19], v[20:21] offset1:1
	v_add_u32_e32 v16, 0x440, v16
	s_andn2_b64 exec, exec, s[24:25]
	s_cbranch_execz .LBB24_150
.LBB24_154:                             ;   Parent Loop BB24_148 Depth=1
                                        ;     Parent Loop BB24_151 Depth=2
                                        ; =>    This Inner Loop Header: Depth=3
	s_and_b64 vcc, exec, s[14:15]
	s_cbranch_vccz .LBB24_156
; %bb.155:                              ;   in Loop: Header=BB24_154 Depth=3
	v_add_u32_e32 v4, s40, v17
	v_mad_u64_u32 v[4:5], s[38:39], v4, s31, v[2:3]
	s_cbranch_execnz .LBB24_153
	s_branch .LBB24_157
.LBB24_156:                             ;   in Loop: Header=BB24_154 Depth=3
                                        ; implicit-def: $vgpr4
.LBB24_157:                             ;   in Loop: Header=BB24_154 Depth=3
	v_add_u32_e32 v4, v15, v17
	s_branch .LBB24_153
.LBB24_158:                             ;   in Loop: Header=BB24_148 Depth=1
	s_or_b64 exec, exec, s[12:13]
	s_and_b64 vcc, exec, s[6:7]
	s_waitcnt lgkmcnt(0)
	s_cbranch_vccnz .LBB24_182
; %bb.159:                              ;   in Loop: Header=BB24_148 Depth=1
	s_and_b64 vcc, exec, s[8:9]
	s_mov_b32 s24, 0
	s_cbranch_vccnz .LBB24_173
; %bb.160:                              ;   in Loop: Header=BB24_148 Depth=1
	s_mov_b32 s40, 0
	v_mov_b32_e32 v2, v12
	v_mov_b32_e32 v4, v11
	;; [unrolled: 1-line block ×4, first 2 shown]
	s_branch .LBB24_162
.LBB24_161:                             ;   in Loop: Header=BB24_162 Depth=2
	s_or_b64 exec, exec, s[18:19]
	s_add_i32 s40, s40, 2
	v_add_u32_e32 v14, 32, v14
	v_add_u32_e32 v5, 0x240, v5
	;; [unrolled: 1-line block ×4, first 2 shown]
	s_cmp_eq_u32 s40, s42
	s_mov_b32 s24, s42
	s_cbranch_scc1 .LBB24_173
.LBB24_162:                             ;   Parent Loop BB24_148 Depth=1
                                        ; =>  This Loop Header: Depth=2
                                        ;       Child Loop BB24_165 Depth 3
                                        ;         Child Loop BB24_167 Depth 4
                                        ;       Child Loop BB24_170 Depth 3
                                        ;         Child Loop BB24_172 Depth 4
	s_and_saveexec_b64 s[18:19], s[0:1]
	s_cbranch_execz .LBB24_161
; %bb.163:                              ;   in Loop: Header=BB24_162 Depth=2
	v_add_u32_e32 v15, s40, v6
	s_lshl_b32 s41, s40, 4
	v_cmp_gt_i32_e32 vcc, s31, v15
	s_mov_b64 s[22:23], 0
	s_addk_i32 s41, 0x1100
	v_mov_b32_e32 v16, v14
	v_mov_b32_e32 v17, v1
	s_branch .LBB24_165
.LBB24_164:                             ;   in Loop: Header=BB24_165 Depth=3
	s_or_b64 exec, exec, s[24:25]
	v_add_u32_e32 v17, 16, v17
	v_cmp_le_i32_e64 s[12:13], s31, v17
	s_or_b64 s[22:23], s[12:13], s[22:23]
	v_add_u32_e32 v16, 0x1100, v16
	s_andn2_b64 exec, exec, s[22:23]
	s_cbranch_execz .LBB24_168
.LBB24_165:                             ;   Parent Loop BB24_148 Depth=1
                                        ;     Parent Loop BB24_162 Depth=2
                                        ; =>    This Loop Header: Depth=3
                                        ;         Child Loop BB24_167 Depth 4
	s_and_saveexec_b64 s[24:25], vcc
	s_cbranch_execz .LBB24_164
; %bb.166:                              ;   in Loop: Header=BB24_165 Depth=3
	v_mul_lo_u32 v18, v17, s45
	v_add_u32_e32 v18, s41, v18
	s_mov_b64 s[38:39], 0
	v_mov_b32_e32 v19, v5
	v_mov_b32_e32 v20, v16
	;; [unrolled: 1-line block ×3, first 2 shown]
.LBB24_167:                             ;   Parent Loop BB24_148 Depth=1
                                        ;     Parent Loop BB24_162 Depth=2
                                        ;       Parent Loop BB24_165 Depth=3
                                        ; =>      This Inner Loop Header: Depth=4
	ds_read_b128 v[22:25], v19
	ds_read_b128 v[26:29], v18
	;; [unrolled: 1-line block ×3, first 2 shown]
	v_add_u32_e32 v21, 4, v21
	v_cmp_le_i32_e64 s[12:13], s31, v21
	s_or_b64 s[38:39], s[12:13], s[38:39]
	v_add_u32_e32 v19, 64, v19
	s_waitcnt lgkmcnt(0)
	v_fma_f64 v[30:31], -v[22:23], v[26:27], v[30:31]
	v_fma_f64 v[26:27], -v[24:25], v[26:27], v[32:33]
	v_fmac_f64_e32 v[30:31], v[24:25], v[28:29]
	v_fma_f64 v[32:33], -v[22:23], v[28:29], v[26:27]
	ds_write_b128 v20, v[30:33]
	v_add_u32_e32 v20, 64, v20
	s_andn2_b64 exec, exec, s[38:39]
	s_cbranch_execnz .LBB24_167
	s_branch .LBB24_164
.LBB24_168:                             ;   in Loop: Header=BB24_162 Depth=2
	s_or_b64 exec, exec, s[22:23]
	v_add3_u32 v15, v6, s40, 1
	v_cmp_gt_i32_e32 vcc, s31, v15
	s_mov_b64 s[22:23], 0
	v_mov_b32_e32 v16, v2
	v_mov_b32_e32 v17, v1
	s_branch .LBB24_170
.LBB24_169:                             ;   in Loop: Header=BB24_170 Depth=3
	s_or_b64 exec, exec, s[24:25]
	v_add_u32_e32 v17, 16, v17
	v_cmp_le_i32_e64 s[12:13], s31, v17
	s_or_b64 s[22:23], s[12:13], s[22:23]
	v_add_u32_e32 v16, 0x1100, v16
	s_andn2_b64 exec, exec, s[22:23]
	s_cbranch_execz .LBB24_161
.LBB24_170:                             ;   Parent Loop BB24_148 Depth=1
                                        ;     Parent Loop BB24_162 Depth=2
                                        ; =>    This Loop Header: Depth=3
                                        ;         Child Loop BB24_172 Depth 4
	s_and_saveexec_b64 s[24:25], vcc
	s_cbranch_execz .LBB24_169
; %bb.171:                              ;   in Loop: Header=BB24_170 Depth=3
	v_mul_lo_u32 v18, v17, s45
	v_add_u32_e32 v18, s41, v18
	s_mov_b64 s[38:39], 0
	v_mov_b32_e32 v19, v16
	v_mov_b32_e32 v20, v4
	;; [unrolled: 1-line block ×3, first 2 shown]
.LBB24_172:                             ;   Parent Loop BB24_148 Depth=1
                                        ;     Parent Loop BB24_162 Depth=2
                                        ;       Parent Loop BB24_170 Depth=3
                                        ; =>      This Inner Loop Header: Depth=4
	ds_read_b128 v[22:25], v20
	ds_read_b128 v[26:29], v18 offset:16
	ds_read_b128 v[30:33], v19
	v_add_u32_e32 v21, 4, v21
	v_cmp_le_i32_e64 s[12:13], s31, v21
	v_add_u32_e32 v20, 64, v20
	s_or_b64 s[38:39], s[12:13], s[38:39]
	s_waitcnt lgkmcnt(0)
	v_fma_f64 v[30:31], -v[22:23], v[26:27], v[30:31]
	v_fma_f64 v[26:27], -v[24:25], v[26:27], v[32:33]
	v_fmac_f64_e32 v[30:31], v[24:25], v[28:29]
	v_fma_f64 v[32:33], -v[22:23], v[28:29], v[26:27]
	ds_write_b128 v19, v[30:33]
	v_add_u32_e32 v19, 64, v19
	s_andn2_b64 exec, exec, s[38:39]
	s_cbranch_execnz .LBB24_172
	s_branch .LBB24_169
.LBB24_173:                             ;   in Loop: Header=BB24_148 Depth=1
	s_and_b64 vcc, exec, s[10:11]
	s_mov_b64 s[12:13], -1
	s_cbranch_vccnz .LBB24_183
; %bb.174:                              ;   in Loop: Header=BB24_148 Depth=1
	s_and_saveexec_b64 s[12:13], s[2:3]
	s_xor_b64 s[12:13], exec, s[12:13]
	s_cbranch_execz .LBB24_176
; %bb.175:                              ;   in Loop: Header=BB24_148 Depth=1
	s_waitcnt lgkmcnt(0)
.LBB24_176:                             ;   in Loop: Header=BB24_148 Depth=1
	s_or_saveexec_b64 s[18:19], s[12:13]
	s_mov_b64 s[12:13], 0
	s_xor_b64 exec, exec, s[18:19]
	s_cbranch_execz .LBB24_185
; %bb.177:                              ;   in Loop: Header=BB24_148 Depth=1
	v_add_u32_e32 v2, s24, v6
	v_add_u32_e32 v4, s24, v3
	s_mul_i32 s12, s24, 0x120
	s_lshl_b32 s40, s24, 4
	v_cmp_gt_i32_e32 vcc, s31, v2
	v_lshl_add_u32 v4, v4, 4, v13
	v_add_u32_e32 v5, s12, v10
	s_mov_b64 s[22:23], 0
	s_addk_i32 s40, 0x1100
	v_mov_b32_e32 v14, v1
	s_branch .LBB24_179
.LBB24_178:                             ;   in Loop: Header=BB24_179 Depth=2
	s_or_b64 exec, exec, s[24:25]
	v_add_u32_e32 v14, 16, v14
	v_cmp_le_i32_e64 s[12:13], s31, v14
	s_or_b64 s[22:23], s[12:13], s[22:23]
	v_add_u32_e32 v4, 0x1100, v4
	s_andn2_b64 exec, exec, s[22:23]
	s_cbranch_execz .LBB24_184
.LBB24_179:                             ;   Parent Loop BB24_148 Depth=1
                                        ; =>  This Loop Header: Depth=2
                                        ;       Child Loop BB24_181 Depth 3
	s_and_saveexec_b64 s[24:25], vcc
	s_cbranch_execz .LBB24_178
; %bb.180:                              ;   in Loop: Header=BB24_179 Depth=2
	v_mul_lo_u32 v15, v14, s45
	v_add_u32_e32 v15, s40, v15
	s_mov_b64 s[38:39], 0
	v_mov_b32_e32 v16, v5
	v_mov_b32_e32 v17, v4
	;; [unrolled: 1-line block ×3, first 2 shown]
.LBB24_181:                             ;   Parent Loop BB24_148 Depth=1
                                        ;     Parent Loop BB24_179 Depth=2
                                        ; =>    This Inner Loop Header: Depth=3
	ds_read_b128 v[20:23], v16
	ds_read_b128 v[24:27], v15
	;; [unrolled: 1-line block ×3, first 2 shown]
	v_add_u32_e32 v18, 4, v18
	v_cmp_le_i32_e64 s[12:13], s31, v18
	s_or_b64 s[38:39], s[12:13], s[38:39]
	v_add_u32_e32 v16, 64, v16
	s_waitcnt lgkmcnt(0)
	v_fma_f64 v[28:29], -v[20:21], v[24:25], v[28:29]
	v_fma_f64 v[24:25], -v[22:23], v[24:25], v[30:31]
	v_fmac_f64_e32 v[28:29], v[22:23], v[26:27]
	v_fma_f64 v[30:31], -v[20:21], v[26:27], v[24:25]
	ds_write_b128 v17, v[28:31]
	v_add_u32_e32 v17, 64, v17
	s_andn2_b64 exec, exec, s[38:39]
	s_cbranch_execnz .LBB24_181
	s_branch .LBB24_178
.LBB24_182:                             ;   in Loop: Header=BB24_148 Depth=1
	s_mov_b64 s[12:13], -1
.LBB24_183:                             ;   in Loop: Header=BB24_148 Depth=1
	s_and_saveexec_b64 s[18:19], s[12:13]
	s_xor_b64 s[12:13], exec, s[18:19]
	s_cbranch_execz .LBB24_147
	s_branch .LBB24_186
.LBB24_184:                             ;   in Loop: Header=BB24_148 Depth=1
	s_or_b64 exec, exec, s[22:23]
	s_mov_b64 s[12:13], exec
.LBB24_185:                             ;   in Loop: Header=BB24_148 Depth=1
	s_or_b64 exec, exec, s[18:19]
	s_and_saveexec_b64 s[18:19], s[12:13]
	s_xor_b64 s[12:13], exec, s[18:19]
	s_cbranch_execz .LBB24_147
.LBB24_186:                             ;   in Loop: Header=BB24_148 Depth=1
	s_waitcnt lgkmcnt(0)
	s_and_saveexec_b64 s[18:19], s[0:1]
	s_cbranch_execz .LBB24_146
; %bb.187:                              ;   in Loop: Header=BB24_148 Depth=1
	s_mul_i32 s46, s35, s31
	s_mov_b64 s[22:23], 0
	v_mov_b32_e32 v14, v8
	v_mov_b32_e32 v15, v7
	;; [unrolled: 1-line block ×3, first 2 shown]
	s_branch .LBB24_189
.LBB24_188:                             ;   in Loop: Header=BB24_189 Depth=2
	s_or_b64 exec, exec, s[24:25]
	v_add_u32_e32 v2, 16, v2
	v_cmp_le_i32_e32 vcc, s31, v2
	v_add_u32_e32 v15, s44, v15
	s_or_b64 s[22:23], vcc, s[22:23]
	v_add_u32_e32 v14, 0x100, v14
	s_andn2_b64 exec, exec, s[22:23]
	s_cbranch_execz .LBB24_146
.LBB24_189:                             ;   Parent Loop BB24_148 Depth=1
                                        ; =>  This Loop Header: Depth=2
                                        ;       Child Loop BB24_192 Depth 3
	s_and_saveexec_b64 s[24:25], s[4:5]
	s_cbranch_execz .LBB24_188
; %bb.190:                              ;   in Loop: Header=BB24_189 Depth=2
	s_mov_b64 s[38:39], 0
	v_mov_b32_e32 v16, v14
	v_mov_b32_e32 v17, v3
	s_branch .LBB24_192
.LBB24_191:                             ;   in Loop: Header=BB24_192 Depth=3
	ds_read2_b64 v[18:21], v16 offset1:1
	v_add_u32_e32 v17, 4, v17
	v_ashrrev_i32_e32 v5, 31, v4
	v_cmp_le_i32_e32 vcc, s31, v17
	v_lshl_add_u64 v[4:5], v[4:5], 4, s[20:21]
	s_or_b64 s[38:39], vcc, s[38:39]
	v_add_u32_e32 v16, 0x440, v16
	s_waitcnt lgkmcnt(0)
	global_store_dwordx4 v[4:5], v[18:21], off
	s_andn2_b64 exec, exec, s[38:39]
	s_cbranch_execz .LBB24_188
.LBB24_192:                             ;   Parent Loop BB24_148 Depth=1
                                        ;     Parent Loop BB24_189 Depth=2
                                        ; =>    This Inner Loop Header: Depth=3
	s_and_b64 vcc, exec, s[14:15]
	s_cbranch_vccz .LBB24_194
; %bb.193:                              ;   in Loop: Header=BB24_192 Depth=3
	v_add_u32_e32 v4, s46, v17
	v_mad_u64_u32 v[4:5], s[40:41], v4, s31, v[2:3]
	s_cbranch_execnz .LBB24_191
	s_branch .LBB24_195
.LBB24_194:                             ;   in Loop: Header=BB24_192 Depth=3
                                        ; implicit-def: $vgpr4
.LBB24_195:                             ;   in Loop: Header=BB24_192 Depth=3
	v_add_u32_e32 v4, v15, v17
	s_branch .LBB24_191
.LBB24_196:
	v_and_b32_e32 v0, 0xfffff, v0
	v_cmp_eq_u32_e32 vcc, 0, v0
	s_and_saveexec_b64 s[0:1], vcc
	s_cbranch_execz .LBB24_200
; %bb.197:
	s_add_u32 s0, s28, s36
	s_addc_u32 s1, s29, s37
	v_mov_b32_e32 v0, 0
	v_mov_b32_e32 v1, 1
	buffer_wbl2 sc1
	s_waitcnt vmcnt(0) lgkmcnt(0)
	global_store_dword v0, v1, s[0:1] sc1
	s_and_b64 exec, exec, s[16:17]
	s_cbranch_execz .LBB24_200
; %bb.198:
	v_mbcnt_lo_u32_b32 v0, exec_lo, 0
	v_mbcnt_hi_u32_b32 v0, exec_hi, v0
	v_cmp_eq_u32_e32 vcc, 0, v0
	s_and_b64 exec, exec, vcc
	s_cbranch_execz .LBB24_200
; %bb.199:
	s_add_i32 s0, s30, s34
	v_mov_b32_e32 v0, 0
	v_mov_b32_e32 v1, s0
	global_atomic_smin v0, v1, s[26:27]
.LBB24_200:
	s_endpgm
	.section	.rodata,"a",@progbits
	.p2align	6, 0x0
	.amdhsa_kernel _ZN9rocsparseL12bsrilu0_9_32ILj64ELj64ELj16E21rocsparse_complex_numIdEEEv20rocsparse_direction_iPKiS5_PT2_S5_iPiS5_S8_21rocsparse_index_base_imNS_24const_host_device_scalarIfEENSA_IdEENSA_IS6_EEb
		.amdhsa_group_segment_fixed_size 8704
		.amdhsa_private_segment_fixed_size 48
		.amdhsa_kernarg_size 124
		.amdhsa_user_sgpr_count 2
		.amdhsa_user_sgpr_dispatch_ptr 0
		.amdhsa_user_sgpr_queue_ptr 0
		.amdhsa_user_sgpr_kernarg_segment_ptr 1
		.amdhsa_user_sgpr_dispatch_id 0
		.amdhsa_user_sgpr_kernarg_preload_length 0
		.amdhsa_user_sgpr_kernarg_preload_offset 0
		.amdhsa_user_sgpr_private_segment_size 0
		.amdhsa_uses_dynamic_stack 0
		.amdhsa_enable_private_segment 1
		.amdhsa_system_sgpr_workgroup_id_x 1
		.amdhsa_system_sgpr_workgroup_id_y 0
		.amdhsa_system_sgpr_workgroup_id_z 0
		.amdhsa_system_sgpr_workgroup_info 0
		.amdhsa_system_vgpr_workitem_id 1
		.amdhsa_next_free_vgpr 81
		.amdhsa_next_free_sgpr 96
		.amdhsa_accum_offset 48
		.amdhsa_reserve_vcc 1
		.amdhsa_float_round_mode_32 0
		.amdhsa_float_round_mode_16_64 0
		.amdhsa_float_denorm_mode_32 3
		.amdhsa_float_denorm_mode_16_64 3
		.amdhsa_dx10_clamp 1
		.amdhsa_ieee_mode 1
		.amdhsa_fp16_overflow 0
		.amdhsa_tg_split 0
		.amdhsa_exception_fp_ieee_invalid_op 0
		.amdhsa_exception_fp_denorm_src 0
		.amdhsa_exception_fp_ieee_div_zero 0
		.amdhsa_exception_fp_ieee_overflow 0
		.amdhsa_exception_fp_ieee_underflow 0
		.amdhsa_exception_fp_ieee_inexact 0
		.amdhsa_exception_int_div_zero 0
	.end_amdhsa_kernel
	.section	.text._ZN9rocsparseL12bsrilu0_9_32ILj64ELj64ELj16E21rocsparse_complex_numIdEEEv20rocsparse_direction_iPKiS5_PT2_S5_iPiS5_S8_21rocsparse_index_base_imNS_24const_host_device_scalarIfEENSA_IdEENSA_IS6_EEb,"axG",@progbits,_ZN9rocsparseL12bsrilu0_9_32ILj64ELj64ELj16E21rocsparse_complex_numIdEEEv20rocsparse_direction_iPKiS5_PT2_S5_iPiS5_S8_21rocsparse_index_base_imNS_24const_host_device_scalarIfEENSA_IdEENSA_IS6_EEb,comdat
.Lfunc_end24:
	.size	_ZN9rocsparseL12bsrilu0_9_32ILj64ELj64ELj16E21rocsparse_complex_numIdEEEv20rocsparse_direction_iPKiS5_PT2_S5_iPiS5_S8_21rocsparse_index_base_imNS_24const_host_device_scalarIfEENSA_IdEENSA_IS6_EEb, .Lfunc_end24-_ZN9rocsparseL12bsrilu0_9_32ILj64ELj64ELj16E21rocsparse_complex_numIdEEEv20rocsparse_direction_iPKiS5_PT2_S5_iPiS5_S8_21rocsparse_index_base_imNS_24const_host_device_scalarIfEENSA_IdEENSA_IS6_EEb
                                        ; -- End function
	.set _ZN9rocsparseL12bsrilu0_9_32ILj64ELj64ELj16E21rocsparse_complex_numIdEEEv20rocsparse_direction_iPKiS5_PT2_S5_iPiS5_S8_21rocsparse_index_base_imNS_24const_host_device_scalarIfEENSA_IdEENSA_IS6_EEb.num_vgpr, 46
	.set _ZN9rocsparseL12bsrilu0_9_32ILj64ELj64ELj16E21rocsparse_complex_numIdEEEv20rocsparse_direction_iPKiS5_PT2_S5_iPiS5_S8_21rocsparse_index_base_imNS_24const_host_device_scalarIfEENSA_IdEENSA_IS6_EEb.num_agpr, 0
	.set _ZN9rocsparseL12bsrilu0_9_32ILj64ELj64ELj16E21rocsparse_complex_numIdEEEv20rocsparse_direction_iPKiS5_PT2_S5_iPiS5_S8_21rocsparse_index_base_imNS_24const_host_device_scalarIfEENSA_IdEENSA_IS6_EEb.numbered_sgpr, 61
	.set _ZN9rocsparseL12bsrilu0_9_32ILj64ELj64ELj16E21rocsparse_complex_numIdEEEv20rocsparse_direction_iPKiS5_PT2_S5_iPiS5_S8_21rocsparse_index_base_imNS_24const_host_device_scalarIfEENSA_IdEENSA_IS6_EEb.num_named_barrier, 0
	.set _ZN9rocsparseL12bsrilu0_9_32ILj64ELj64ELj16E21rocsparse_complex_numIdEEEv20rocsparse_direction_iPKiS5_PT2_S5_iPiS5_S8_21rocsparse_index_base_imNS_24const_host_device_scalarIfEENSA_IdEENSA_IS6_EEb.private_seg_size, 48
	.set _ZN9rocsparseL12bsrilu0_9_32ILj64ELj64ELj16E21rocsparse_complex_numIdEEEv20rocsparse_direction_iPKiS5_PT2_S5_iPiS5_S8_21rocsparse_index_base_imNS_24const_host_device_scalarIfEENSA_IdEENSA_IS6_EEb.uses_vcc, 1
	.set _ZN9rocsparseL12bsrilu0_9_32ILj64ELj64ELj16E21rocsparse_complex_numIdEEEv20rocsparse_direction_iPKiS5_PT2_S5_iPiS5_S8_21rocsparse_index_base_imNS_24const_host_device_scalarIfEENSA_IdEENSA_IS6_EEb.uses_flat_scratch, 0
	.set _ZN9rocsparseL12bsrilu0_9_32ILj64ELj64ELj16E21rocsparse_complex_numIdEEEv20rocsparse_direction_iPKiS5_PT2_S5_iPiS5_S8_21rocsparse_index_base_imNS_24const_host_device_scalarIfEENSA_IdEENSA_IS6_EEb.has_dyn_sized_stack, 0
	.set _ZN9rocsparseL12bsrilu0_9_32ILj64ELj64ELj16E21rocsparse_complex_numIdEEEv20rocsparse_direction_iPKiS5_PT2_S5_iPiS5_S8_21rocsparse_index_base_imNS_24const_host_device_scalarIfEENSA_IdEENSA_IS6_EEb.has_recursion, 0
	.set _ZN9rocsparseL12bsrilu0_9_32ILj64ELj64ELj16E21rocsparse_complex_numIdEEEv20rocsparse_direction_iPKiS5_PT2_S5_iPiS5_S8_21rocsparse_index_base_imNS_24const_host_device_scalarIfEENSA_IdEENSA_IS6_EEb.has_indirect_call, 0
	.section	.AMDGPU.csdata,"",@progbits
; Kernel info:
; codeLenInByte = 6128
; TotalNumSgprs: 67
; NumVgprs: 46
; NumAgprs: 0
; TotalNumVgprs: 46
; ScratchSize: 48
; MemoryBound: 0
; FloatMode: 240
; IeeeMode: 1
; LDSByteSize: 8704 bytes/workgroup (compile time only)
; SGPRBlocks: 12
; VGPRBlocks: 10
; NumSGPRsForWavesPerEU: 102
; NumVGPRsForWavesPerEU: 81
; AccumOffset: 48
; Occupancy: 5
; WaveLimiterHint : 1
; COMPUTE_PGM_RSRC2:SCRATCH_EN: 1
; COMPUTE_PGM_RSRC2:USER_SGPR: 2
; COMPUTE_PGM_RSRC2:TRAP_HANDLER: 0
; COMPUTE_PGM_RSRC2:TGID_X_EN: 1
; COMPUTE_PGM_RSRC2:TGID_Y_EN: 0
; COMPUTE_PGM_RSRC2:TGID_Z_EN: 0
; COMPUTE_PGM_RSRC2:TIDIG_COMP_CNT: 1
; COMPUTE_PGM_RSRC3_GFX90A:ACCUM_OFFSET: 11
; COMPUTE_PGM_RSRC3_GFX90A:TG_SPLIT: 0
	.section	.text._ZN9rocsparseL12bsrilu0_9_32ILj64ELj64ELj32E21rocsparse_complex_numIdEEEv20rocsparse_direction_iPKiS5_PT2_S5_iPiS5_S8_21rocsparse_index_base_imNS_24const_host_device_scalarIfEENSA_IdEENSA_IS6_EEb,"axG",@progbits,_ZN9rocsparseL12bsrilu0_9_32ILj64ELj64ELj32E21rocsparse_complex_numIdEEEv20rocsparse_direction_iPKiS5_PT2_S5_iPiS5_S8_21rocsparse_index_base_imNS_24const_host_device_scalarIfEENSA_IdEENSA_IS6_EEb,comdat
	.globl	_ZN9rocsparseL12bsrilu0_9_32ILj64ELj64ELj32E21rocsparse_complex_numIdEEEv20rocsparse_direction_iPKiS5_PT2_S5_iPiS5_S8_21rocsparse_index_base_imNS_24const_host_device_scalarIfEENSA_IdEENSA_IS6_EEb ; -- Begin function _ZN9rocsparseL12bsrilu0_9_32ILj64ELj64ELj32E21rocsparse_complex_numIdEEEv20rocsparse_direction_iPKiS5_PT2_S5_iPiS5_S8_21rocsparse_index_base_imNS_24const_host_device_scalarIfEENSA_IdEENSA_IS6_EEb
	.p2align	8
	.type	_ZN9rocsparseL12bsrilu0_9_32ILj64ELj64ELj32E21rocsparse_complex_numIdEEEv20rocsparse_direction_iPKiS5_PT2_S5_iPiS5_S8_21rocsparse_index_base_imNS_24const_host_device_scalarIfEENSA_IdEENSA_IS6_EEb,@function
_ZN9rocsparseL12bsrilu0_9_32ILj64ELj64ELj32E21rocsparse_complex_numIdEEEv20rocsparse_direction_iPKiS5_PT2_S5_iPiS5_S8_21rocsparse_index_base_imNS_24const_host_device_scalarIfEENSA_IdEENSA_IS6_EEb: ; @_ZN9rocsparseL12bsrilu0_9_32ILj64ELj64ELj32E21rocsparse_complex_numIdEEEv20rocsparse_direction_iPKiS5_PT2_S5_iPiS5_S8_21rocsparse_index_base_imNS_24const_host_device_scalarIfEENSA_IdEENSA_IS6_EEb
; %bb.0:
	s_load_dword s3, s[0:1], 0x78
	s_load_dwordx8 s[24:31], s[0:1], 0x50
	s_load_dwordx2 s[4:5], s[0:1], 0x70
	s_load_dwordx2 s[34:35], s[0:1], 0x48
	s_waitcnt lgkmcnt(0)
	s_bitcmp1_b32 s3, 0
	s_cselect_b64 s[6:7], -1, 0
	v_mov_b64_e32 v[2:3], s[30:31]
	s_cmp_eq_u32 s35, 0
	s_cselect_b64 s[14:15], -1, 0
	s_cmp_lg_u32 s35, 0
	s_cselect_b64 s[8:9], -1, 0
	s_or_b64 s[16:17], s[14:15], s[6:7]
	s_xor_b64 s[10:11], s[16:17], -1
	s_and_b64 s[12:13], s[14:15], exec
	s_cselect_b32 s13, 0, s29
	s_cselect_b32 s12, 0, s28
	s_and_b64 vcc, exec, s[16:17]
	scratch_store_dwordx2 off, v[2:3], off offset:32
	s_cbranch_vccnz .LBB25_2
; %bb.1:
	s_load_dword s3, s[26:27], 0x0
	s_mov_b64 s[12:13], s[28:29]
	s_waitcnt lgkmcnt(0)
	v_mov_b32_e32 v1, s3
	s_andn2_b64 vcc, exec, s[10:11]
	v_mov_b64_e32 v[10:11], s[12:13]
	s_cbranch_vccz .LBB25_3
	s_branch .LBB25_4
.LBB25_2:
	v_mov_b32_e32 v1, s26
	v_cndmask_b32_e64 v1, v1, 0, s[14:15]
	s_andn2_b64 vcc, exec, s[10:11]
	v_mov_b64_e32 v[10:11], s[12:13]
	s_cbranch_vccnz .LBB25_4
.LBB25_3:
	v_mov_b64_e32 v[2:3], s[28:29]
	flat_load_dwordx2 v[10:11], v[2:3]
.LBB25_4:
	v_cndmask_b32_e64 v4, 0, 1, s[8:9]
	v_mov_b64_e32 v[2:3], 0
	v_cmp_ne_u32_e64 s[14:15], 1, v4
	s_andn2_b64 vcc, exec, s[8:9]
	v_mov_b64_e32 v[4:5], 0
	s_cbranch_vccnz .LBB25_7
; %bb.5:
	s_xor_b64 s[10:11], s[6:7], -1
	s_mov_b64 s[8:9], src_private_base
	s_and_b64 s[6:7], s[6:7], exec
	s_cselect_b32 s3, s9, s31
	s_cselect_b32 s6, 32, s30
	v_mov_b32_e32 v2, s6
	v_mov_b32_e32 v3, s3
	flat_load_dwordx2 v[2:3], v[2:3]
	s_andn2_b64 vcc, exec, s[10:11]
	v_mov_b64_e32 v[4:5], s[4:5]
	s_cbranch_vccnz .LBB25_7
; %bb.6:
	v_mov_b64_e32 v[4:5], s[30:31]
	flat_load_dwordx2 v[4:5], v[4:5] offset:8
.LBB25_7:
	s_load_dwordx4 s[28:31], s[0:1], 0x30
	s_load_dwordx2 s[26:27], s[0:1], 0x40
	s_mov_b32 s3, 0
	s_lshl_b64 s[2:3], s[2:3], 2
	s_waitcnt lgkmcnt(0)
	s_add_u32 s2, s30, s2
	s_addc_u32 s3, s31, s3
	s_load_dword s30, s[2:3], 0x0
	s_load_dwordx8 s[16:23], s[0:1], 0x8
	s_waitcnt vmcnt(0)
	scratch_store_dwordx4 off, v[2:5], off
	s_waitcnt lgkmcnt(0)
	s_ashr_i32 s31, s30, 31
	s_lshl_b64 s[36:37], s[30:31], 2
	s_add_u32 s2, s22, s36
	s_addc_u32 s3, s23, s37
	s_load_dword s38, s[2:3], 0x0
	s_waitcnt lgkmcnt(0)
	s_cmp_eq_u32 s38, -1
	s_cbranch_scc1 .LBB25_104
; %bb.8:
	s_add_u32 s2, s16, s36
	s_addc_u32 s3, s17, s37
	s_load_dwordx2 s[4:5], s[2:3], 0x0
	s_load_dwordx2 s[40:41], s[0:1], 0x0
	s_load_dword s31, s[0:1], 0x28
	s_mov_b64 s[42:43], 0
	s_waitcnt lgkmcnt(0)
	s_sub_i32 s44, s4, s34
	s_sub_i32 s33, s5, s34
	s_cmp_ge_i32 s44, s38
	s_cbranch_scc1 .LBB25_93
; %bb.9:
	v_bfe_u32 v19, v0, 10, 10
	v_and_b32_e32 v18, 0x3ff, v0
	v_lshlrev_b32_e32 v2, 5, v19
	v_add3_u32 v12, v2, v18, s44
	s_mul_i32 s0, s31, s44
	v_ashrrev_i32_e32 v13, 31, v12
	v_add_u32_e32 v2, s0, v18
	s_cmp_lg_u32 s40, 0
	v_lshl_add_u64 v[14:15], v[12:13], 2, s[18:19]
	v_mul_lo_u32 v13, s31, v2
	s_movk_i32 s0, 0x210
	v_lshlrev_b32_e32 v2, 4, v18
	s_cselect_b64 s[46:47], -1, 0
	s_cmp_gt_i32 s31, 0
	v_mad_u32_u24 v22, v19, s0, v2
	v_add_u32_e32 v26, 0x4200, v2
	v_mbcnt_lo_u32_b32 v2, -1, 0
	v_cmp_gt_i32_e64 s[2:3], s31, v18
	v_cmp_le_i32_e64 s[4:5], s31, v18
	v_cmp_gt_i32_e64 s[6:7], s31, v19
	s_cselect_b64 s[48:49], -1, 0
	v_cmp_eq_u32_e64 s[8:9], 0, v19
	v_add_u32_e32 v20, 1, v19
	v_cmp_gt_i32_e64 s[10:11], s33, v12
	s_add_i32 s35, s41, 1
	s_mul_i32 s39, s31, s31
	s_lshl_b32 s41, s31, 5
	v_mul_u32_u24_e32 v21, 0x210, v19
	v_add_u32_e32 v23, 0x4200, v22
	v_add_u32_e32 v24, 0x4410, v22
	v_mad_u32_u24 v25, v19, s0, s0
	v_mov_b32_e32 v27, 0
	v_mbcnt_hi_u32_b32 v28, -1, v2
	s_branch .LBB25_12
.LBB25_10:                              ;   in Loop: Header=BB25_12 Depth=1
	s_mov_b64 s[42:43], -1
.LBB25_11:                              ;   in Loop: Header=BB25_12 Depth=1
	s_add_i32 s44, s44, 1
	s_cmp_lt_i32 s44, s38
	s_cselect_b64 s[0:1], -1, 0
	s_and_b64 s[0:1], s[12:13], s[0:1]
	v_add_u32_e32 v13, s39, v13
	s_and_b64 vcc, exec, s[0:1]
	s_cbranch_vccz .LBB25_93
.LBB25_12:                              ; =>This Loop Header: Depth=1
                                        ;     Child Loop BB25_15 Depth 2
                                        ;       Child Loop BB25_18 Depth 3
                                        ;     Child Loop BB25_24 Depth 2
                                        ;     Child Loop BB25_28 Depth 2
                                        ;       Child Loop BB25_31 Depth 3
                                        ;     Child Loop BB25_38 Depth 2
                                        ;       Child Loop BB25_41 Depth 3
                                        ;         Child Loop BB25_45 Depth 4
                                        ;     Child Loop BB25_49 Depth 2
                                        ;       Child Loop BB25_52 Depth 3
                                        ;     Child Loop BB25_61 Depth 2
                                        ;       Child Loop BB25_66 Depth 3
                                        ;       Child Loop BB25_75 Depth 3
                                        ;         Child Loop BB25_78 Depth 4
                                        ;       Child Loop BB25_84 Depth 3
                                        ;         Child Loop BB25_87 Depth 4
                                        ;           Child Loop BB25_88 Depth 5
	s_ashr_i32 s45, s44, 31
	s_lshl_b64 s[0:1], s[44:45], 2
	s_add_u32 s0, s18, s0
	s_addc_u32 s1, s19, s1
	global_load_dword v2, v27, s[0:1]
	s_waitcnt vmcnt(0)
	v_readfirstlane_b32 s45, v2
	s_and_saveexec_b64 s[0:1], s[2:3]
	s_cbranch_execz .LBB25_22
; %bb.13:                               ;   in Loop: Header=BB25_12 Depth=1
	s_mul_i32 s56, s44, s31
	s_mov_b64 s[12:13], 0
	v_mov_b32_e32 v3, v23
	v_mov_b32_e32 v6, v13
	v_mov_b32_e32 v2, v18
	s_branch .LBB25_15
.LBB25_14:                              ;   in Loop: Header=BB25_15 Depth=2
	s_or_b64 exec, exec, s[50:51]
	v_add_u32_e32 v2, 32, v2
	v_cmp_le_i32_e32 vcc, s31, v2
	v_add_u32_e32 v6, s41, v6
	s_or_b64 s[12:13], vcc, s[12:13]
	v_add_u32_e32 v3, 0x200, v3
	s_andn2_b64 exec, exec, s[12:13]
	s_cbranch_execz .LBB25_22
.LBB25_15:                              ;   Parent Loop BB25_12 Depth=1
                                        ; =>  This Loop Header: Depth=2
                                        ;       Child Loop BB25_18 Depth 3
	s_and_saveexec_b64 s[50:51], s[6:7]
	s_cbranch_execz .LBB25_14
; %bb.16:                               ;   in Loop: Header=BB25_15 Depth=2
	s_mov_b64 s[52:53], 0
	v_mov_b32_e32 v7, v3
	v_mov_b32_e32 v8, v19
	s_branch .LBB25_18
.LBB25_17:                              ;   in Loop: Header=BB25_18 Depth=3
	v_ashrrev_i32_e32 v5, 31, v4
	v_lshl_add_u64 v[4:5], v[4:5], 4, s[20:21]
	global_load_dwordx4 v[30:33], v[4:5], off
	v_add_u32_e32 v8, 2, v8
	v_cmp_le_i32_e32 vcc, s31, v8
	s_or_b64 s[52:53], vcc, s[52:53]
	s_waitcnt vmcnt(0)
	ds_write2_b64 v7, v[30:31], v[32:33] offset1:1
	v_add_u32_e32 v7, 0x420, v7
	s_andn2_b64 exec, exec, s[52:53]
	s_cbranch_execz .LBB25_14
.LBB25_18:                              ;   Parent Loop BB25_12 Depth=1
                                        ;     Parent Loop BB25_15 Depth=2
                                        ; =>    This Inner Loop Header: Depth=3
	s_and_b64 vcc, exec, s[46:47]
	s_cbranch_vccz .LBB25_20
; %bb.19:                               ;   in Loop: Header=BB25_18 Depth=3
	v_add_u32_e32 v4, s56, v8
	v_mad_u64_u32 v[4:5], s[54:55], v4, s31, v[2:3]
	s_cbranch_execnz .LBB25_17
	s_branch .LBB25_21
.LBB25_20:                              ;   in Loop: Header=BB25_18 Depth=3
                                        ; implicit-def: $vgpr4
.LBB25_21:                              ;   in Loop: Header=BB25_18 Depth=3
	v_add_u32_e32 v4, v6, v8
	s_branch .LBB25_17
.LBB25_22:                              ;   in Loop: Header=BB25_12 Depth=1
	s_or_b64 exec, exec, s[0:1]
	s_sub_i32 s0, s45, s34
	s_ashr_i32 s1, s0, 31
	s_lshl_b64 s[0:1], s[0:1], 2
	s_add_u32 s12, s22, s0
	s_addc_u32 s13, s23, s1
	global_load_dword v2, v27, s[12:13]
	s_waitcnt vmcnt(0)
	v_cmp_eq_u32_e32 vcc, -1, v2
	v_readfirstlane_b32 s45, v2
	v_cmp_ne_u32_e64 s[12:13], -1, v2
	s_cbranch_vccnz .LBB25_10
; %bb.23:                               ;   in Loop: Header=BB25_12 Depth=1
	s_add_u32 s50, s16, s0
	s_addc_u32 s51, s17, s1
	global_load_dword v2, v27, s[50:51] offset:4
	s_add_u32 s0, s28, s0
	s_addc_u32 s1, s29, s1
	s_waitcnt vmcnt(0)
	v_readfirstlane_b32 s58, v2
.LBB25_24:                              ;   Parent Loop BB25_12 Depth=1
                                        ; =>  This Inner Loop Header: Depth=2
	global_load_dword v2, v27, s[0:1] sc1
	s_waitcnt vmcnt(0)
	v_cmp_eq_u32_e32 vcc, 0, v2
	s_cbranch_vccnz .LBB25_24
; %bb.25:                               ;   in Loop: Header=BB25_12 Depth=1
	s_waitcnt lgkmcnt(0)
	buffer_inv sc1
	s_and_saveexec_b64 s[0:1], s[2:3]
	s_cbranch_execz .LBB25_35
; %bb.26:                               ;   in Loop: Header=BB25_12 Depth=1
	s_mul_i32 s59, s45, s31
	v_add_u32_e32 v2, s59, v18
	v_mul_lo_u32 v3, s31, v2
	s_mov_b64 s[50:51], 0
	v_mov_b32_e32 v6, v22
	v_mov_b32_e32 v2, v18
	s_branch .LBB25_28
.LBB25_27:                              ;   in Loop: Header=BB25_28 Depth=2
	s_or_b64 exec, exec, s[52:53]
	v_add_u32_e32 v2, 32, v2
	v_cmp_le_i32_e32 vcc, s31, v2
	v_add_u32_e32 v3, s41, v3
	s_or_b64 s[50:51], vcc, s[50:51]
	v_add_u32_e32 v6, 0x200, v6
	s_andn2_b64 exec, exec, s[50:51]
	s_cbranch_execz .LBB25_35
.LBB25_28:                              ;   Parent Loop BB25_12 Depth=1
                                        ; =>  This Loop Header: Depth=2
                                        ;       Child Loop BB25_31 Depth 3
	s_and_saveexec_b64 s[52:53], s[6:7]
	s_cbranch_execz .LBB25_27
; %bb.29:                               ;   in Loop: Header=BB25_28 Depth=2
	s_mov_b64 s[54:55], 0
	v_mov_b32_e32 v7, v6
	v_mov_b32_e32 v8, v19
	s_branch .LBB25_31
.LBB25_30:                              ;   in Loop: Header=BB25_31 Depth=3
	v_ashrrev_i32_e32 v5, 31, v4
	v_lshl_add_u64 v[4:5], v[4:5], 4, s[20:21]
	global_load_dwordx4 v[30:33], v[4:5], off
	v_add_u32_e32 v8, 2, v8
	v_cmp_le_i32_e32 vcc, s31, v8
	s_or_b64 s[54:55], vcc, s[54:55]
	s_waitcnt vmcnt(0)
	ds_write2_b64 v7, v[30:31], v[32:33] offset1:1
	v_add_u32_e32 v7, 0x420, v7
	s_andn2_b64 exec, exec, s[54:55]
	s_cbranch_execz .LBB25_27
.LBB25_31:                              ;   Parent Loop BB25_12 Depth=1
                                        ;     Parent Loop BB25_28 Depth=2
                                        ; =>    This Inner Loop Header: Depth=3
	s_and_b64 vcc, exec, s[46:47]
	s_cbranch_vccz .LBB25_33
; %bb.32:                               ;   in Loop: Header=BB25_31 Depth=3
	v_add_u32_e32 v4, s59, v8
	v_mad_u64_u32 v[4:5], s[56:57], v4, s31, v[2:3]
	s_cbranch_execnz .LBB25_30
	s_branch .LBB25_34
.LBB25_33:                              ;   in Loop: Header=BB25_31 Depth=3
                                        ; implicit-def: $vgpr4
.LBB25_34:                              ;   in Loop: Header=BB25_31 Depth=3
	v_add_u32_e32 v4, v3, v8
	s_branch .LBB25_30
.LBB25_35:                              ;   in Loop: Header=BB25_12 Depth=1
	s_or_b64 exec, exec, s[0:1]
	s_andn2_b64 vcc, exec, s[48:49]
	s_waitcnt lgkmcnt(0)
	s_cbranch_vccnz .LBB25_46
; %bb.36:                               ;   in Loop: Header=BB25_12 Depth=1
	s_mov_b32 s59, 0
	v_mov_b32_e32 v29, v25
	v_mov_b32_e32 v30, v24
	s_branch .LBB25_38
.LBB25_37:                              ;   in Loop: Header=BB25_38 Depth=2
	s_or_b64 exec, exec, s[50:51]
	s_add_i32 s59, s59, 1
	v_add_u32_e32 v30, 0x210, v30
	s_cmp_eq_u32 s59, s31
	v_add_u32_e32 v29, 0x220, v29
	s_waitcnt lgkmcnt(0)
	s_cbranch_scc1 .LBB25_46
.LBB25_38:                              ;   Parent Loop BB25_12 Depth=1
                                        ; =>  This Loop Header: Depth=2
                                        ;       Child Loop BB25_41 Depth 3
                                        ;         Child Loop BB25_45 Depth 4
	s_and_saveexec_b64 s[50:51], s[2:3]
	s_cbranch_execz .LBB25_37
; %bb.39:                               ;   in Loop: Header=BB25_38 Depth=2
	s_mul_i32 s60, s59, 0x210
	s_lshl_b32 s0, s59, 4
	s_add_i32 s0, s60, s0
	v_mov_b32_e32 v2, s0
	ds_read_b128 v[2:5], v2
	v_add_u32_e32 v31, s59, v20
	s_addk_i32 s60, 0x4200
	s_mov_b64 s[52:53], 0
	s_waitcnt lgkmcnt(0)
	v_mul_f64 v[6:7], v[4:5], v[4:5]
	v_fmac_f64_e32 v[6:7], v[2:3], v[2:3]
	v_div_scale_f64 v[8:9], s[0:1], v[6:7], v[6:7], 1.0
	v_rcp_f64_e32 v[16:17], v[8:9]
	v_div_scale_f64 v[32:33], vcc, 1.0, v[6:7], 1.0
	v_fma_f64 v[34:35], -v[8:9], v[16:17], 1.0
	v_fmac_f64_e32 v[16:17], v[16:17], v[34:35]
	v_fma_f64 v[34:35], -v[8:9], v[16:17], 1.0
	v_fmac_f64_e32 v[16:17], v[16:17], v[34:35]
	v_mul_f64 v[34:35], v[32:33], v[16:17]
	v_fma_f64 v[8:9], -v[8:9], v[34:35], v[32:33]
	v_div_fmas_f64 v[8:9], v[8:9], v[16:17], v[34:35]
	v_div_fixup_f64 v[16:17], v[8:9], v[6:7], 1.0
	v_cmp_gt_i32_e32 vcc, s31, v31
	v_mov_b32_e32 v32, v30
	v_mov_b32_e32 v33, v18
	s_branch .LBB25_41
.LBB25_40:                              ;   in Loop: Header=BB25_41 Depth=3
	s_or_b64 exec, exec, s[54:55]
	v_add_u32_e32 v33, 32, v33
	v_cmp_le_i32_e64 s[0:1], s31, v33
	s_or_b64 s[52:53], s[0:1], s[52:53]
	v_add_u32_e32 v32, 0x200, v32
	s_andn2_b64 exec, exec, s[52:53]
	s_cbranch_execz .LBB25_37
.LBB25_41:                              ;   Parent Loop BB25_12 Depth=1
                                        ;     Parent Loop BB25_38 Depth=2
                                        ; =>    This Loop Header: Depth=3
                                        ;         Child Loop BB25_45 Depth 4
	v_lshl_add_u32 v34, v33, 4, s60
	ds_read_b128 v[6:9], v34
	s_waitcnt lgkmcnt(0)
	v_mul_f64 v[36:37], v[4:5], v[8:9]
	v_mul_f64 v[38:39], v[4:5], -v[6:7]
	v_fmac_f64_e32 v[36:37], v[6:7], v[2:3]
	v_fmac_f64_e32 v[38:39], v[8:9], v[2:3]
	v_mul_f64 v[6:7], v[16:17], v[36:37]
	v_mul_f64 v[8:9], v[16:17], v[38:39]
	s_and_saveexec_b64 s[0:1], s[8:9]
; %bb.42:                               ;   in Loop: Header=BB25_41 Depth=3
	ds_write_b128 v34, v[6:9]
; %bb.43:                               ;   in Loop: Header=BB25_41 Depth=3
	s_or_b64 exec, exec, s[0:1]
	s_and_saveexec_b64 s[54:55], vcc
	s_cbranch_execz .LBB25_40
; %bb.44:                               ;   in Loop: Header=BB25_41 Depth=3
	s_mov_b64 s[56:57], 0
	v_mov_b32_e32 v34, v29
	v_mov_b32_e32 v35, v32
	;; [unrolled: 1-line block ×3, first 2 shown]
.LBB25_45:                              ;   Parent Loop BB25_12 Depth=1
                                        ;     Parent Loop BB25_38 Depth=2
                                        ;       Parent Loop BB25_41 Depth=3
                                        ; =>      This Inner Loop Header: Depth=4
	ds_read_b128 v[38:41], v34
	ds_read_b128 v[42:45], v35
	v_add_u32_e32 v36, 2, v36
	v_cmp_le_i32_e64 s[0:1], s31, v36
	s_or_b64 s[56:57], s[0:1], s[56:57]
	v_add_u32_e32 v34, 0x420, v34
	s_waitcnt lgkmcnt(0)
	v_fma_f64 v[42:43], -v[6:7], v[38:39], v[42:43]
	v_fma_f64 v[38:39], -v[8:9], v[38:39], v[44:45]
	v_fmac_f64_e32 v[42:43], v[8:9], v[40:41]
	v_fma_f64 v[44:45], -v[6:7], v[40:41], v[38:39]
	ds_write_b128 v35, v[42:45]
	v_add_u32_e32 v35, 0x420, v35
	s_andn2_b64 exec, exec, s[56:57]
	s_cbranch_execnz .LBB25_45
	s_branch .LBB25_40
.LBB25_46:                              ;   in Loop: Header=BB25_12 Depth=1
	s_and_saveexec_b64 s[0:1], s[2:3]
	s_cbranch_execz .LBB25_56
; %bb.47:                               ;   in Loop: Header=BB25_12 Depth=1
	s_mul_i32 s59, s44, s31
	s_mov_b64 s[50:51], 0
	v_mov_b32_e32 v3, v23
	v_mov_b32_e32 v6, v13
	v_mov_b32_e32 v2, v18
	s_branch .LBB25_49
.LBB25_48:                              ;   in Loop: Header=BB25_49 Depth=2
	s_or_b64 exec, exec, s[52:53]
	v_add_u32_e32 v2, 32, v2
	v_cmp_le_i32_e32 vcc, s31, v2
	v_add_u32_e32 v6, s41, v6
	s_or_b64 s[50:51], vcc, s[50:51]
	v_add_u32_e32 v3, 0x200, v3
	s_andn2_b64 exec, exec, s[50:51]
	s_cbranch_execz .LBB25_56
.LBB25_49:                              ;   Parent Loop BB25_12 Depth=1
                                        ; =>  This Loop Header: Depth=2
                                        ;       Child Loop BB25_52 Depth 3
	s_and_saveexec_b64 s[52:53], s[6:7]
	s_cbranch_execz .LBB25_48
; %bb.50:                               ;   in Loop: Header=BB25_49 Depth=2
	s_mov_b64 s[54:55], 0
	v_mov_b32_e32 v7, v3
	v_mov_b32_e32 v8, v19
	s_branch .LBB25_52
.LBB25_51:                              ;   in Loop: Header=BB25_52 Depth=3
	ds_read2_b64 v[30:33], v7 offset1:1
	v_add_u32_e32 v8, 2, v8
	v_ashrrev_i32_e32 v5, 31, v4
	v_cmp_le_i32_e32 vcc, s31, v8
	v_lshl_add_u64 v[4:5], v[4:5], 4, s[20:21]
	s_or_b64 s[54:55], vcc, s[54:55]
	v_add_u32_e32 v7, 0x420, v7
	s_waitcnt lgkmcnt(0)
	global_store_dwordx4 v[4:5], v[30:33], off
	s_andn2_b64 exec, exec, s[54:55]
	s_cbranch_execz .LBB25_48
.LBB25_52:                              ;   Parent Loop BB25_12 Depth=1
                                        ;     Parent Loop BB25_49 Depth=2
                                        ; =>    This Inner Loop Header: Depth=3
	s_and_b64 vcc, exec, s[46:47]
	s_cbranch_vccz .LBB25_54
; %bb.53:                               ;   in Loop: Header=BB25_52 Depth=3
	v_add_u32_e32 v4, s59, v8
	v_mad_u64_u32 v[4:5], s[56:57], v4, s31, v[2:3]
	s_cbranch_execnz .LBB25_51
	s_branch .LBB25_55
.LBB25_54:                              ;   in Loop: Header=BB25_52 Depth=3
                                        ; implicit-def: $vgpr4
.LBB25_55:                              ;   in Loop: Header=BB25_52 Depth=3
	v_add_u32_e32 v4, v6, v8
	s_branch .LBB25_51
.LBB25_56:                              ;   in Loop: Header=BB25_12 Depth=1
	s_or_b64 exec, exec, s[0:1]
	s_sub_i32 s60, s58, s34
	s_add_i32 s0, s45, 1
	s_cmp_ge_i32 s0, s60
	s_cbranch_scc1 .LBB25_11
; %bb.57:                               ;   in Loop: Header=BB25_12 Depth=1
	s_mul_i32 s1, s31, s0
	v_add_u32_e32 v2, s1, v18
	v_mul_lo_u32 v16, s31, v2
	s_branch .LBB25_61
.LBB25_58:                              ;   in Loop: Header=BB25_61 Depth=2
	s_or_b64 exec, exec, s[52:53]
.LBB25_59:                              ;   in Loop: Header=BB25_61 Depth=2
	s_or_b64 exec, exec, s[50:51]
.LBB25_60:                              ;   in Loop: Header=BB25_61 Depth=2
	s_add_i32 s0, s0, 1
	s_cmp_lt_i32 s0, s60
	v_add_u32_e32 v16, s39, v16
	s_waitcnt lgkmcnt(0)
	s_cbranch_scc0 .LBB25_11
.LBB25_61:                              ;   Parent Loop BB25_12 Depth=1
                                        ; =>  This Loop Header: Depth=2
                                        ;       Child Loop BB25_66 Depth 3
                                        ;       Child Loop BB25_75 Depth 3
                                        ;         Child Loop BB25_78 Depth 4
                                        ;       Child Loop BB25_84 Depth 3
                                        ;         Child Loop BB25_87 Depth 4
                                        ;           Child Loop BB25_88 Depth 5
	s_ashr_i32 s1, s0, 31
	s_lshl_b64 s[50:51], s[0:1], 2
	s_add_u32 s50, s18, s50
	s_addc_u32 s51, s19, s51
	global_load_dword v2, v27, s[50:51]
	v_mov_b32_e32 v3, s35
	s_and_saveexec_b64 s[50:51], s[10:11]
	s_cbranch_execz .LBB25_63
; %bb.62:                               ;   in Loop: Header=BB25_61 Depth=2
	global_load_dword v3, v[14:15], off
	s_waitcnt vmcnt(0)
	v_subrev_u32_e32 v3, s34, v3
.LBB25_63:                              ;   in Loop: Header=BB25_61 Depth=2
	s_or_b64 exec, exec, s[50:51]
	s_waitcnt vmcnt(0)
	v_subrev_u32_e32 v4, s34, v2
	v_cmp_lt_i32_e32 vcc, v3, v4
	v_mov_b32_e32 v5, v12
	s_and_saveexec_b64 s[50:51], vcc
	s_cbranch_execz .LBB25_69
; %bb.64:                               ;   in Loop: Header=BB25_61 Depth=2
	s_mov_b64 s[52:53], 0
	v_mov_b32_e32 v2, v12
	s_branch .LBB25_66
.LBB25_65:                              ;   in Loop: Header=BB25_66 Depth=3
	s_or_b64 exec, exec, s[54:55]
	v_cmp_ge_i32_e32 vcc, v3, v4
	s_or_b64 s[52:53], vcc, s[52:53]
	v_mov_b32_e32 v2, v5
	s_andn2_b64 exec, exec, s[52:53]
	s_cbranch_execz .LBB25_68
.LBB25_66:                              ;   Parent Loop BB25_12 Depth=1
                                        ;     Parent Loop BB25_61 Depth=2
                                        ; =>    This Inner Loop Header: Depth=3
	v_add_u32_e32 v5, 64, v2
	v_cmp_gt_i32_e32 vcc, s33, v5
	v_mov_b32_e32 v3, s35
	s_and_saveexec_b64 s[54:55], vcc
	s_cbranch_execz .LBB25_65
; %bb.67:                               ;   in Loop: Header=BB25_66 Depth=3
	v_ashrrev_i32_e32 v3, 31, v2
	v_lshl_add_u64 v[2:3], v[2:3], 2, s[18:19]
	global_load_dword v2, v[2:3], off offset:256
	s_waitcnt vmcnt(0)
	v_subrev_u32_e32 v3, s34, v2
	s_branch .LBB25_65
.LBB25_68:                              ;   in Loop: Header=BB25_61 Depth=2
	s_or_b64 exec, exec, s[52:53]
.LBB25_69:                              ;   in Loop: Header=BB25_61 Depth=2
	s_or_b64 exec, exec, s[50:51]
	v_cmp_eq_u32_e32 vcc, v3, v4
	s_cbranch_vccz .LBB25_60
; %bb.70:                               ;   in Loop: Header=BB25_61 Depth=2
	s_ff1_i32_b64 s1, vcc
	v_and_or_b32 v2, v28, 64, s1
	v_lshlrev_b32_e32 v2, 2, v2
	ds_bpermute_b32 v3, v2, v5
	s_and_saveexec_b64 s[50:51], s[4:5]
	s_xor_b64 s[50:51], exec, s[50:51]
	s_cbranch_execz .LBB25_72
; %bb.71:                               ;   in Loop: Header=BB25_61 Depth=2
	s_waitcnt lgkmcnt(0)
                                        ; implicit-def: $vgpr3
.LBB25_72:                              ;   in Loop: Header=BB25_61 Depth=2
	s_andn2_saveexec_b64 s[50:51], s[50:51]
	s_cbranch_execz .LBB25_59
; %bb.73:                               ;   in Loop: Header=BB25_61 Depth=2
	s_mul_i32 s1, s0, s31
	s_mov_b64 s[52:53], 0
	v_mov_b32_e32 v6, v22
	v_mov_b32_e32 v7, v16
	;; [unrolled: 1-line block ×3, first 2 shown]
	s_branch .LBB25_75
.LBB25_74:                              ;   in Loop: Header=BB25_75 Depth=3
	s_or_b64 exec, exec, s[54:55]
	v_add_u32_e32 v2, 32, v2
	v_cmp_le_i32_e32 vcc, s31, v2
	v_add_u32_e32 v7, s41, v7
	s_or_b64 s[52:53], vcc, s[52:53]
	v_add_u32_e32 v6, 0x200, v6
	s_andn2_b64 exec, exec, s[52:53]
	s_cbranch_execz .LBB25_82
.LBB25_75:                              ;   Parent Loop BB25_12 Depth=1
                                        ;     Parent Loop BB25_61 Depth=2
                                        ; =>    This Loop Header: Depth=3
                                        ;         Child Loop BB25_78 Depth 4
	s_and_saveexec_b64 s[54:55], s[6:7]
	s_cbranch_execz .LBB25_74
; %bb.76:                               ;   in Loop: Header=BB25_75 Depth=3
	s_mov_b64 s[56:57], 0
	v_mov_b32_e32 v8, v6
	v_mov_b32_e32 v9, v19
	s_branch .LBB25_78
.LBB25_77:                              ;   in Loop: Header=BB25_78 Depth=4
	v_ashrrev_i32_e32 v5, 31, v4
	v_lshl_add_u64 v[4:5], v[4:5], 4, s[20:21]
	global_load_dwordx4 v[30:33], v[4:5], off
	v_add_u32_e32 v9, 2, v9
	v_cmp_le_i32_e32 vcc, s31, v9
	s_or_b64 s[56:57], vcc, s[56:57]
	s_waitcnt vmcnt(0)
	ds_write2_b64 v8, v[30:31], v[32:33] offset1:1
	v_add_u32_e32 v8, 0x420, v8
	s_andn2_b64 exec, exec, s[56:57]
	s_cbranch_execz .LBB25_74
.LBB25_78:                              ;   Parent Loop BB25_12 Depth=1
                                        ;     Parent Loop BB25_61 Depth=2
                                        ;       Parent Loop BB25_75 Depth=3
                                        ; =>      This Inner Loop Header: Depth=4
	s_and_b64 vcc, exec, s[46:47]
	s_cbranch_vccz .LBB25_80
; %bb.79:                               ;   in Loop: Header=BB25_78 Depth=4
	v_add_u32_e32 v4, s1, v9
	s_waitcnt lgkmcnt(0)
	v_mad_u64_u32 v[4:5], s[58:59], v4, s31, v[2:3]
	s_cbranch_execnz .LBB25_77
	s_branch .LBB25_81
.LBB25_80:                              ;   in Loop: Header=BB25_78 Depth=4
                                        ; implicit-def: $vgpr4
.LBB25_81:                              ;   in Loop: Header=BB25_78 Depth=4
	v_add_u32_e32 v4, v7, v9
	s_branch .LBB25_77
.LBB25_82:                              ;   in Loop: Header=BB25_61 Depth=2
	s_or_b64 exec, exec, s[52:53]
	s_waitcnt lgkmcnt(0)
	v_mul_lo_u32 v3, v3, s31
	s_mov_b64 s[52:53], 0
	v_mov_b32_e32 v17, v26
	v_mov_b32_e32 v2, v18
	s_branch .LBB25_84
.LBB25_83:                              ;   in Loop: Header=BB25_84 Depth=3
	s_or_b64 exec, exec, s[54:55]
	v_add_u32_e32 v2, 32, v2
	v_cmp_le_i32_e32 vcc, s31, v2
	s_or_b64 s[52:53], vcc, s[52:53]
	v_add_u32_e32 v17, 0x200, v17
	s_andn2_b64 exec, exec, s[52:53]
	s_cbranch_execz .LBB25_58
.LBB25_84:                              ;   Parent Loop BB25_12 Depth=1
                                        ;     Parent Loop BB25_61 Depth=2
                                        ; =>    This Loop Header: Depth=3
                                        ;         Child Loop BB25_87 Depth 4
                                        ;           Child Loop BB25_88 Depth 5
	s_and_saveexec_b64 s[54:55], s[6:7]
	s_cbranch_execz .LBB25_83
; %bb.85:                               ;   in Loop: Header=BB25_84 Depth=3
	v_add_u32_e32 v4, v2, v3
	v_mul_lo_u32 v29, v4, s31
	s_mov_b64 s[56:57], 0
	v_mov_b32_e32 v30, v21
	v_mov_b32_e32 v31, v19
	s_branch .LBB25_87
.LBB25_86:                              ;   in Loop: Header=BB25_87 Depth=4
	v_ashrrev_i32_e32 v9, 31, v8
	v_lshl_add_u64 v[8:9], v[8:9], 4, s[20:21]
	global_load_dwordx4 v[32:35], v[8:9], off
	v_add_u32_e32 v31, 2, v31
	v_cmp_le_i32_e32 vcc, s31, v31
	s_or_b64 s[56:57], vcc, s[56:57]
	v_add_u32_e32 v30, 0x420, v30
	s_waitcnt vmcnt(0)
	v_add_f64 v[4:5], v[32:33], -v[4:5]
	v_add_f64 v[6:7], v[34:35], -v[6:7]
	global_store_dwordx4 v[8:9], v[4:7], off
	s_andn2_b64 exec, exec, s[56:57]
	s_cbranch_execz .LBB25_83
.LBB25_87:                              ;   Parent Loop BB25_12 Depth=1
                                        ;     Parent Loop BB25_61 Depth=2
                                        ;       Parent Loop BB25_84 Depth=3
                                        ; =>      This Loop Header: Depth=4
                                        ;           Child Loop BB25_88 Depth 5
	v_mov_b64_e32 v[4:5], 0
	v_mov_b32_e32 v8, v17
	v_mov_b32_e32 v9, v30
	s_mov_b32 s1, s31
	v_mov_b64_e32 v[6:7], 0
.LBB25_88:                              ;   Parent Loop BB25_12 Depth=1
                                        ;     Parent Loop BB25_61 Depth=2
                                        ;       Parent Loop BB25_84 Depth=3
                                        ;         Parent Loop BB25_87 Depth=4
                                        ; =>        This Inner Loop Header: Depth=5
	ds_read_b128 v[32:35], v8
	ds_read_b128 v[36:39], v9
	s_add_i32 s1, s1, -1
	v_add_u32_e32 v9, 16, v9
	v_add_u32_e32 v8, 0x210, v8
	s_cmp_eq_u32 s1, 0
	s_waitcnt lgkmcnt(0)
	v_fmac_f64_e32 v[4:5], v[32:33], v[36:37]
	v_fmac_f64_e32 v[6:7], v[34:35], v[36:37]
	v_fma_f64 v[4:5], -v[34:35], v[38:39], v[4:5]
	v_fmac_f64_e32 v[6:7], v[32:33], v[38:39]
	s_cbranch_scc0 .LBB25_88
; %bb.89:                               ;   in Loop: Header=BB25_87 Depth=4
	s_and_b64 vcc, exec, s[46:47]
	s_cbranch_vccz .LBB25_91
; %bb.90:                               ;   in Loop: Header=BB25_87 Depth=4
	v_add_u32_e32 v8, v31, v3
	v_mad_u64_u32 v[8:9], s[58:59], v8, s31, v[2:3]
	s_cbranch_execnz .LBB25_86
	s_branch .LBB25_92
.LBB25_91:                              ;   in Loop: Header=BB25_87 Depth=4
                                        ; implicit-def: $vgpr8
.LBB25_92:                              ;   in Loop: Header=BB25_87 Depth=4
	v_add_u32_e32 v8, v31, v29
	s_branch .LBB25_86
.LBB25_93:
	s_ashr_i32 s39, s38, 31
	s_lshl_b64 s[0:1], s[38:39], 2
	s_add_u32 s0, s18, s0
	s_addc_u32 s1, s19, s1
	v_mov_b32_e32 v2, 0
	global_load_dword v2, v2, s[0:1]
	s_waitcnt vmcnt(0)
	v_subrev_u32_e32 v2, s34, v2
	v_cmp_ne_u32_e32 vcc, s30, v2
	s_cbranch_vccnz .LBB25_105
; %bb.94:
	v_and_b32_e32 v6, 0x3ff, v0
	v_cmp_gt_i32_e64 s[2:3], s31, v6
	v_lshlrev_b32_e32 v7, 4, v6
	s_and_saveexec_b64 s[4:5], s[2:3]
	s_cbranch_execz .LBB25_106
; %bb.95:
	s_mul_i32 s18, s38, s31
	v_bfe_u32 v3, v0, 10, 10
	s_cmp_lg_u32 s40, 0
	v_add_u32_e32 v2, s18, v6
	s_movk_i32 s8, 0x210
	v_cmp_gt_u32_e64 s[0:1], s31, v3
	s_cselect_b64 s[6:7], -1, 0
	v_mul_lo_u32 v8, s31, v2
	s_lshl_b32 s19, s31, 5
	v_mad_u32_u24 v9, v3, s8, v7
	s_mov_b64 s[8:9], 0
	v_mov_b32_e32 v2, v6
	s_branch .LBB25_97
.LBB25_96:                              ;   in Loop: Header=BB25_97 Depth=1
	s_or_b64 exec, exec, s[10:11]
	v_add_u32_e32 v2, 32, v2
	v_cmp_le_i32_e32 vcc, s31, v2
	v_add_u32_e32 v8, s19, v8
	s_or_b64 s[8:9], vcc, s[8:9]
	v_add_u32_e32 v9, 0x200, v9
	s_andn2_b64 exec, exec, s[8:9]
	s_cbranch_execz .LBB25_106
.LBB25_97:                              ; =>This Loop Header: Depth=1
                                        ;     Child Loop BB25_100 Depth 2
	s_and_saveexec_b64 s[10:11], s[0:1]
	s_cbranch_execz .LBB25_96
; %bb.98:                               ;   in Loop: Header=BB25_97 Depth=1
	s_mov_b64 s[12:13], 0
	v_mov_b32_e32 v12, v9
	v_mov_b32_e32 v13, v3
	s_branch .LBB25_100
.LBB25_99:                              ;   in Loop: Header=BB25_100 Depth=2
	v_ashrrev_i32_e32 v5, 31, v4
	v_lshl_add_u64 v[4:5], v[4:5], 4, s[20:21]
	global_load_dwordx4 v[14:17], v[4:5], off
	v_add_u32_e32 v13, 2, v13
	v_cmp_le_i32_e32 vcc, s31, v13
	s_or_b64 s[12:13], vcc, s[12:13]
	s_waitcnt vmcnt(0)
	ds_write2_b64 v12, v[14:15], v[16:17] offset1:1
	v_add_u32_e32 v12, 0x420, v12
	s_andn2_b64 exec, exec, s[12:13]
	s_cbranch_execz .LBB25_96
.LBB25_100:                             ;   Parent Loop BB25_97 Depth=1
                                        ; =>  This Inner Loop Header: Depth=2
	s_and_b64 vcc, exec, s[6:7]
	s_cbranch_vccz .LBB25_102
; %bb.101:                              ;   in Loop: Header=BB25_100 Depth=2
	v_add_u32_e32 v4, s18, v13
	v_mad_u64_u32 v[4:5], s[16:17], v4, s31, v[2:3]
	s_cbranch_execnz .LBB25_99
	s_branch .LBB25_103
.LBB25_102:                             ;   in Loop: Header=BB25_100 Depth=2
                                        ; implicit-def: $vgpr4
.LBB25_103:                             ;   in Loop: Header=BB25_100 Depth=2
	v_add_u32_e32 v4, v8, v13
	s_branch .LBB25_99
.LBB25_104:
	s_mov_b64 s[16:17], -1
	s_branch .LBB25_196
.LBB25_105:
	s_mov_b64 s[16:17], s[42:43]
	s_add_i32 s35, s38, 1
	s_cmp_ge_i32 s35, s33
	s_cbranch_scc0 .LBB25_145
	s_branch .LBB25_196
.LBB25_106:
	s_or_b64 exec, exec, s[4:5]
	s_cmp_lt_i32 s31, 1
	s_waitcnt lgkmcnt(0)
	s_cbranch_scc1 .LBB25_134
; %bb.107:
	s_cmp_eq_u64 s[24:25], 8
	v_cvt_f64_f32_e32 v[2:3], v1
	s_cselect_b64 vcc, -1, 0
	v_bfe_u32 v1, v0, 10, 10
	v_cndmask_b32_e32 v8, v2, v10, vcc
	v_or_b32_e32 v2, v6, v1
	v_cmp_eq_u32_e64 s[4:5], 0, v2
	s_movk_i32 s35, 0x210
	v_mul_u32_u24_e32 v2, 0x210, v1
	s_movk_i32 s0, 0x220
	s_mov_b32 s10, 0
	v_cndmask_b32_e32 v9, v3, v11, vcc
	v_mov_b32_e32 v23, 0
	v_cmp_eq_u32_e64 s[6:7], 0, v1
	v_add3_u32 v16, v2, v7, s0
	v_mad_u32_u24 v17, v1, s35, s35
	s_mov_b64 s[8:9], 0
	s_brev_b32 s11, 8
	v_mov_b32_e32 v18, 0x260
	v_mov_b32_e32 v19, 0x100
	v_mov_b32_e32 v20, 0xffffff80
	v_mov_b32_e32 v21, 16
	v_mov_b32_e32 v22, 0
                                        ; implicit-def: $sgpr16_sgpr17
	s_branch .LBB25_109
.LBB25_108:                             ;   in Loop: Header=BB25_109 Depth=1
	s_or_b64 exec, exec, s[0:1]
	v_cmp_eq_u32_e32 vcc, s31, v10
	s_or_b64 s[8:9], vcc, s[8:9]
	s_andn2_b64 s[0:1], s[16:17], exec
	s_and_b64 s[12:13], s[42:43], exec
	v_add_u32_e32 v16, 0x220, v16
	v_add_u32_e32 v17, 0x220, v17
	s_or_b64 s[16:17], s[0:1], s[12:13]
	v_mov_b32_e32 v23, v10
	s_andn2_b64 exec, exec, s[8:9]
	s_cbranch_execz .LBB25_133
.LBB25_109:                             ; =>This Loop Header: Depth=1
                                        ;     Child Loop BB25_126 Depth 2
                                        ;       Child Loop BB25_130 Depth 3
	v_mul_lo_u32 v24, v23, s35
	v_lshl_add_u32 v25, v23, 4, v24
	ds_read2_b64 v[2:5], v25 offset1:1
	s_mov_b64 s[0:1], -1
	s_and_b64 vcc, exec, s[14:15]
	s_mov_b64 s[18:19], 0
	s_waitcnt lgkmcnt(0)
	scratch_store_dwordx4 off, v[2:5], off offset:16
	s_cbranch_vccz .LBB25_113
; %bb.110:                              ;   in Loop: Header=BB25_109 Depth=1
	s_mov_b64 s[12:13], 0
	s_and_b64 vcc, exec, s[0:1]
	s_cbranch_vccnz .LBB25_122
.LBB25_111:                             ;   in Loop: Header=BB25_109 Depth=1
                                        ; implicit-def: $vgpr10
	s_and_saveexec_b64 s[0:1], s[18:19]
	s_xor_b64 s[18:19], exec, s[0:1]
	s_cbranch_execnz .LBB25_123
.LBB25_112:                             ;   in Loop: Header=BB25_109 Depth=1
	s_or_b64 exec, exec, s[18:19]
	s_and_saveexec_b64 s[0:1], s[12:13]
	s_cbranch_execz .LBB25_108
	s_branch .LBB25_132
.LBB25_113:                             ;   in Loop: Header=BB25_109 Depth=1
	v_xor_b32_e32 v10, 0x80000000, v3
	v_cmp_gt_f64_e32 vcc, 0, v[2:3]
	v_xor_b32_e32 v12, 0x80000000, v5
                                        ; implicit-def: $vgpr14_vgpr15
	s_nop 0
	v_cndmask_b32_e32 v11, v3, v10, vcc
	v_cmp_gt_f64_e32 vcc, 0, v[4:5]
	v_mov_b32_e32 v10, v2
	s_nop 0
	v_cndmask_b32_e32 v13, v5, v12, vcc
	v_mov_b32_e32 v12, v4
	v_cmp_ngt_f64_e32 vcc, v[10:11], v[12:13]
	s_and_saveexec_b64 s[0:1], vcc
	s_xor_b64 s[0:1], exec, s[0:1]
	s_cbranch_execz .LBB25_117
; %bb.114:                              ;   in Loop: Header=BB25_109 Depth=1
	v_mov_b64_e32 v[14:15], 0
	v_cmp_neq_f64_e32 vcc, 0, v[4:5]
	s_and_saveexec_b64 s[12:13], vcc
	s_cbranch_execz .LBB25_116
; %bb.115:                              ;   in Loop: Header=BB25_109 Depth=1
	v_div_scale_f64 v[14:15], s[18:19], v[12:13], v[12:13], v[10:11]
	v_rcp_f64_e32 v[26:27], v[14:15]
	v_div_scale_f64 v[28:29], vcc, v[10:11], v[12:13], v[10:11]
	v_fma_f64 v[30:31], -v[14:15], v[26:27], 1.0
	v_fmac_f64_e32 v[26:27], v[26:27], v[30:31]
	v_fma_f64 v[30:31], -v[14:15], v[26:27], 1.0
	v_fmac_f64_e32 v[26:27], v[26:27], v[30:31]
	v_mul_f64 v[30:31], v[28:29], v[26:27]
	v_fma_f64 v[14:15], -v[14:15], v[30:31], v[28:29]
	v_div_fmas_f64 v[14:15], v[14:15], v[26:27], v[30:31]
	v_div_fixup_f64 v[10:11], v[14:15], v[12:13], v[10:11]
	v_fma_f64 v[10:11], v[10:11], v[10:11], 1.0
	v_cmp_gt_f64_e32 vcc, s[10:11], v[10:11]
	s_nop 1
	v_cndmask_b32_e32 v14, 0, v19, vcc
	v_ldexp_f64 v[10:11], v[10:11], v14
	v_rsq_f64_e32 v[14:15], v[10:11]
	s_nop 0
	v_mul_f64 v[26:27], v[10:11], v[14:15]
	v_mul_f64 v[14:15], v[14:15], 0.5
	v_fma_f64 v[28:29], -v[14:15], v[26:27], 0.5
	v_fmac_f64_e32 v[26:27], v[26:27], v[28:29]
	v_fma_f64 v[30:31], -v[26:27], v[26:27], v[10:11]
	v_fmac_f64_e32 v[14:15], v[14:15], v[28:29]
	v_fmac_f64_e32 v[26:27], v[30:31], v[14:15]
	v_fma_f64 v[28:29], -v[26:27], v[26:27], v[10:11]
	v_fmac_f64_e32 v[26:27], v[28:29], v[14:15]
	v_cndmask_b32_e32 v14, 0, v20, vcc
	v_ldexp_f64 v[14:15], v[26:27], v14
	v_cmp_class_f64_e32 vcc, v[10:11], v18
	s_nop 1
	v_cndmask_b32_e32 v11, v15, v11, vcc
	v_cndmask_b32_e32 v10, v14, v10, vcc
	v_mul_f64 v[14:15], v[12:13], v[10:11]
.LBB25_116:                             ;   in Loop: Header=BB25_109 Depth=1
	s_or_b64 exec, exec, s[12:13]
                                        ; implicit-def: $vgpr10_vgpr11
                                        ; implicit-def: $vgpr12_vgpr13
.LBB25_117:                             ;   in Loop: Header=BB25_109 Depth=1
	s_andn2_saveexec_b64 s[0:1], s[0:1]
	s_cbranch_execz .LBB25_119
; %bb.118:                              ;   in Loop: Header=BB25_109 Depth=1
	v_div_scale_f64 v[14:15], s[12:13], v[10:11], v[10:11], v[12:13]
	v_rcp_f64_e32 v[26:27], v[14:15]
	v_div_scale_f64 v[28:29], vcc, v[12:13], v[10:11], v[12:13]
	v_fma_f64 v[30:31], -v[14:15], v[26:27], 1.0
	v_fmac_f64_e32 v[26:27], v[26:27], v[30:31]
	v_fma_f64 v[30:31], -v[14:15], v[26:27], 1.0
	v_fmac_f64_e32 v[26:27], v[26:27], v[30:31]
	v_mul_f64 v[30:31], v[28:29], v[26:27]
	v_fma_f64 v[14:15], -v[14:15], v[30:31], v[28:29]
	v_div_fmas_f64 v[14:15], v[14:15], v[26:27], v[30:31]
	v_div_fixup_f64 v[12:13], v[14:15], v[10:11], v[12:13]
	v_fma_f64 v[12:13], v[12:13], v[12:13], 1.0
	v_cmp_gt_f64_e32 vcc, s[10:11], v[12:13]
	s_nop 1
	v_cndmask_b32_e32 v14, 0, v19, vcc
	v_ldexp_f64 v[12:13], v[12:13], v14
	v_rsq_f64_e32 v[14:15], v[12:13]
	s_nop 0
	v_mul_f64 v[26:27], v[12:13], v[14:15]
	v_mul_f64 v[14:15], v[14:15], 0.5
	v_fma_f64 v[28:29], -v[14:15], v[26:27], 0.5
	v_fmac_f64_e32 v[26:27], v[26:27], v[28:29]
	v_fma_f64 v[30:31], -v[26:27], v[26:27], v[12:13]
	v_fmac_f64_e32 v[14:15], v[14:15], v[28:29]
	v_fmac_f64_e32 v[26:27], v[30:31], v[14:15]
	v_fma_f64 v[28:29], -v[26:27], v[26:27], v[12:13]
	v_fmac_f64_e32 v[26:27], v[28:29], v[14:15]
	v_cndmask_b32_e32 v14, 0, v20, vcc
	v_ldexp_f64 v[14:15], v[26:27], v14
	v_cmp_class_f64_e32 vcc, v[12:13], v18
	s_nop 1
	v_cndmask_b32_e32 v13, v15, v13, vcc
	v_cndmask_b32_e32 v12, v14, v12, vcc
	v_mul_f64 v[14:15], v[10:11], v[12:13]
.LBB25_119:                             ;   in Loop: Header=BB25_109 Depth=1
	s_or_b64 exec, exec, s[0:1]
	v_cmp_ge_f64_e32 vcc, v[8:9], v[14:15]
	s_nop 1
	v_cndmask_b32_e32 v10, v21, v22, vcc
	scratch_load_dwordx4 v[10:13], v10, off
	s_waitcnt vmcnt(0)
	scratch_store_dwordx4 off, v[10:13], off offset:16
	s_and_saveexec_b64 s[0:1], s[4:5]
	s_cbranch_execz .LBB25_121
; %bb.120:                              ;   in Loop: Header=BB25_109 Depth=1
	scratch_load_dwordx4 v[10:13], off, off offset:16
	s_waitcnt vmcnt(0)
	ds_write2_b64 v25, v[10:11], v[12:13] offset1:1
.LBB25_121:                             ;   in Loop: Header=BB25_109 Depth=1
	s_or_b64 exec, exec, s[0:1]
	s_mov_b64 s[18:19], -1
	s_mov_b64 s[12:13], 0
	s_branch .LBB25_111
.LBB25_122:                             ;   in Loop: Header=BB25_109 Depth=1
	v_cmp_neq_f64_e32 vcc, 0, v[2:3]
	v_cmp_neq_f64_e64 s[0:1], 0, v[4:5]
	s_or_b64 s[0:1], vcc, s[0:1]
	s_andn2_b64 s[18:19], s[18:19], exec
	s_and_b64 s[0:1], s[0:1], exec
	s_mov_b64 s[12:13], -1
	s_or_b64 s[18:19], s[18:19], s[0:1]
                                        ; implicit-def: $vgpr10
	s_and_saveexec_b64 s[0:1], s[18:19]
	s_xor_b64 s[18:19], exec, s[0:1]
	s_cbranch_execz .LBB25_112
.LBB25_123:                             ;   in Loop: Header=BB25_109 Depth=1
	v_add_u32_e32 v10, 1, v23
	v_add_u32_e32 v11, v10, v6
	v_cmp_gt_i32_e32 vcc, s31, v11
	s_and_saveexec_b64 s[22:23], vcc
	s_cbranch_execz .LBB25_131
; %bb.124:                              ;   in Loop: Header=BB25_109 Depth=1
	v_add_u32_e32 v12, v10, v1
	v_cmp_gt_i32_e64 s[0:1], s31, v12
	s_mov_b64 s[24:25], 0
	v_mov_b32_e32 v13, v16
	s_branch .LBB25_126
.LBB25_125:                             ;   in Loop: Header=BB25_126 Depth=2
	s_or_b64 exec, exec, s[44:45]
	v_add_u32_e32 v11, 32, v11
	v_cmp_le_i32_e32 vcc, s31, v11
	s_or_b64 s[24:25], vcc, s[24:25]
	v_add_u32_e32 v13, 0x200, v13
	s_andn2_b64 exec, exec, s[24:25]
	s_cbranch_execz .LBB25_131
.LBB25_126:                             ;   Parent Loop BB25_109 Depth=1
                                        ; =>  This Loop Header: Depth=2
                                        ;       Child Loop BB25_130 Depth 3
	scratch_load_dwordx4 v[2:5], off, off offset:16
	v_lshl_add_u32 v14, v11, 4, v24
	ds_read_b128 v[26:29], v14
	s_waitcnt vmcnt(0) lgkmcnt(0)
	v_mul_f64 v[30:31], v[4:5], v[4:5]
	v_mul_f64 v[32:33], v[28:29], v[4:5]
	v_fmac_f64_e32 v[30:31], v[2:3], v[2:3]
	v_mul_f64 v[4:5], v[4:5], -v[26:27]
	v_fmac_f64_e32 v[32:33], v[26:27], v[2:3]
	v_div_scale_f64 v[26:27], s[44:45], v[30:31], v[30:31], 1.0
	v_rcp_f64_e32 v[34:35], v[26:27]
	v_fmac_f64_e32 v[4:5], v[28:29], v[2:3]
	v_div_scale_f64 v[2:3], vcc, 1.0, v[30:31], 1.0
	v_fma_f64 v[28:29], -v[26:27], v[34:35], 1.0
	v_fmac_f64_e32 v[34:35], v[34:35], v[28:29]
	v_fma_f64 v[28:29], -v[26:27], v[34:35], 1.0
	v_fmac_f64_e32 v[34:35], v[34:35], v[28:29]
	v_mul_f64 v[28:29], v[2:3], v[34:35]
	v_fma_f64 v[2:3], -v[26:27], v[28:29], v[2:3]
	v_div_fmas_f64 v[2:3], v[2:3], v[34:35], v[28:29]
	v_div_fixup_f64 v[26:27], v[2:3], v[30:31], 1.0
	v_mul_f64 v[2:3], v[32:33], v[26:27]
	v_mul_f64 v[4:5], v[4:5], v[26:27]
	s_and_saveexec_b64 s[44:45], s[6:7]
; %bb.127:                              ;   in Loop: Header=BB25_126 Depth=2
	ds_write_b128 v14, v[2:5]
; %bb.128:                              ;   in Loop: Header=BB25_126 Depth=2
	s_or_b64 exec, exec, s[44:45]
	s_and_saveexec_b64 s[44:45], s[0:1]
	s_cbranch_execz .LBB25_125
; %bb.129:                              ;   in Loop: Header=BB25_126 Depth=2
	s_mov_b64 s[46:47], 0
	v_mov_b32_e32 v14, v17
	v_mov_b32_e32 v15, v13
	;; [unrolled: 1-line block ×3, first 2 shown]
.LBB25_130:                             ;   Parent Loop BB25_109 Depth=1
                                        ;     Parent Loop BB25_126 Depth=2
                                        ; =>    This Inner Loop Header: Depth=3
	ds_read_b128 v[26:29], v14
	ds_read_b128 v[30:33], v15
	v_add_u32_e32 v25, 2, v25
	v_cmp_le_i32_e32 vcc, s31, v25
	s_or_b64 s[46:47], vcc, s[46:47]
	v_add_u32_e32 v14, 0x420, v14
	s_waitcnt lgkmcnt(0)
	v_fma_f64 v[30:31], -v[2:3], v[26:27], v[30:31]
	v_fma_f64 v[26:27], -v[4:5], v[26:27], v[32:33]
	v_fmac_f64_e32 v[30:31], v[4:5], v[28:29]
	v_fma_f64 v[32:33], -v[2:3], v[28:29], v[26:27]
	ds_write_b128 v15, v[30:33]
	v_add_u32_e32 v15, 0x420, v15
	s_andn2_b64 exec, exec, s[46:47]
	s_cbranch_execnz .LBB25_130
	s_branch .LBB25_125
.LBB25_131:                             ;   in Loop: Header=BB25_109 Depth=1
	s_or_b64 exec, exec, s[22:23]
	s_andn2_b64 s[12:13], s[12:13], exec
	s_or_b64 exec, exec, s[18:19]
	s_and_saveexec_b64 s[0:1], s[12:13]
	s_cbranch_execz .LBB25_108
.LBB25_132:                             ;   in Loop: Header=BB25_109 Depth=1
	v_add_u32_e32 v10, 1, v23
	s_or_b64 s[42:43], s[42:43], exec
	s_branch .LBB25_108
.LBB25_133:
	s_or_b64 exec, exec, s[8:9]
	s_waitcnt lgkmcnt(0)
	s_and_saveexec_b64 s[4:5], s[2:3]
	s_cbranch_execnz .LBB25_135
	s_branch .LBB25_144
.LBB25_134:
	s_mov_b64 s[16:17], s[42:43]
	s_and_saveexec_b64 s[4:5], s[2:3]
	s_cbranch_execz .LBB25_144
.LBB25_135:
	s_mul_i32 s14, s38, s31
	v_bfe_u32 v1, v0, 10, 10
	s_cmp_lg_u32 s40, 0
	v_add_u32_e32 v2, s14, v6
	s_movk_i32 s6, 0x210
	v_cmp_gt_u32_e64 s[0:1], s31, v1
	s_cselect_b64 s[2:3], -1, 0
	v_mul_lo_u32 v4, s31, v2
	s_lshl_b32 s15, s31, 5
	v_mad_u32_u24 v5, v1, s6, v7
	s_mov_b64 s[6:7], 0
	s_branch .LBB25_137
.LBB25_136:                             ;   in Loop: Header=BB25_137 Depth=1
	s_or_b64 exec, exec, s[8:9]
	v_add_u32_e32 v6, 32, v6
	v_cmp_le_i32_e32 vcc, s31, v6
	v_add_u32_e32 v4, s15, v4
	s_or_b64 s[6:7], vcc, s[6:7]
	v_add_u32_e32 v5, 0x200, v5
	s_andn2_b64 exec, exec, s[6:7]
	s_cbranch_execz .LBB25_144
.LBB25_137:                             ; =>This Loop Header: Depth=1
                                        ;     Child Loop BB25_140 Depth 2
	s_and_saveexec_b64 s[8:9], s[0:1]
	s_cbranch_execz .LBB25_136
; %bb.138:                              ;   in Loop: Header=BB25_137 Depth=1
	s_mov_b64 s[10:11], 0
	v_mov_b32_e32 v7, v5
	v_mov_b32_e32 v8, v1
	s_branch .LBB25_140
.LBB25_139:                             ;   in Loop: Header=BB25_140 Depth=2
	ds_read2_b64 v[10:13], v7 offset1:1
	v_add_u32_e32 v8, 2, v8
	v_ashrrev_i32_e32 v3, 31, v2
	v_cmp_le_i32_e32 vcc, s31, v8
	v_lshl_add_u64 v[2:3], v[2:3], 4, s[20:21]
	s_or_b64 s[10:11], vcc, s[10:11]
	v_add_u32_e32 v7, 0x420, v7
	s_waitcnt lgkmcnt(0)
	global_store_dwordx4 v[2:3], v[10:13], off
	s_andn2_b64 exec, exec, s[10:11]
	s_cbranch_execz .LBB25_136
.LBB25_140:                             ;   Parent Loop BB25_137 Depth=1
                                        ; =>  This Inner Loop Header: Depth=2
	s_and_b64 vcc, exec, s[2:3]
	s_cbranch_vccz .LBB25_142
; %bb.141:                              ;   in Loop: Header=BB25_140 Depth=2
	v_add_u32_e32 v2, s14, v8
	v_mad_u64_u32 v[2:3], s[12:13], v2, s31, v[6:7]
	s_cbranch_execnz .LBB25_139
	s_branch .LBB25_143
.LBB25_142:                             ;   in Loop: Header=BB25_140 Depth=2
                                        ; implicit-def: $vgpr2
.LBB25_143:                             ;   in Loop: Header=BB25_140 Depth=2
	v_add_u32_e32 v2, v4, v8
	s_branch .LBB25_139
.LBB25_144:
	s_or_b64 exec, exec, s[4:5]
	s_add_i32 s35, s38, 1
	s_cmp_ge_i32 s35, s33
	s_cbranch_scc1 .LBB25_196
.LBB25_145:
	v_and_b32_e32 v1, 0x3ff, v0
	s_mul_i32 s12, s31, s35
	v_bfe_u32 v3, v0, 10, 10
	s_cmp_lg_u32 s40, 0
	v_add_u32_e32 v2, s12, v1
	s_cselect_b64 s[14:15], -1, 0
	s_cmp_gt_i32 s31, 0
	v_mul_lo_u32 v7, s31, v2
	v_mul_u32_u24_e32 v2, 0x210, v3
	v_lshlrev_b32_e32 v4, 4, v1
	s_movk_i32 s12, 0x4200
	s_cselect_b64 s[6:7], -1, 0
	s_cmp_lg_u32 s31, 1
	s_movk_i32 s45, 0x210
	v_add3_u32 v8, v2, v4, s12
	v_lshlrev_b32_e32 v2, 4, v3
	s_cselect_b64 s[8:9], -1, 0
	s_and_b32 s42, s31, 0x7ffffffe
	v_mad_u32_u24 v4, v1, s45, v2
	v_add_u32_e32 v10, 16, v2
	v_add_u32_e32 v11, 0x230, v2
	v_mov_b32_e32 v2, 0x4210
	s_bitcmp1_b32 s31, 0
	v_mad_u32_u24 v13, v1, s45, v2
	v_cndmask_b32_e64 v2, 0, 1, s[6:7]
	s_cselect_b64 s[10:11], -1, 0
	v_cmp_ne_u32_e64 s[6:7], 1, v2
	v_cndmask_b32_e64 v2, 0, 1, s[8:9]
	v_cmp_ne_u32_e64 s[8:9], 1, v2
	v_cndmask_b32_e64 v2, 0, 1, s[10:11]
	v_cmp_gt_i32_e64 s[0:1], s31, v1
	v_cmp_le_i32_e64 s[2:3], s31, v1
	v_cmp_gt_i32_e64 s[4:5], s31, v3
	v_add_u32_e32 v6, 1, v3
	s_mul_i32 s43, s31, s31
	s_lshl_b32 s44, s31, 5
	v_add_u32_e32 v9, 0x4210, v4
	v_add_u32_e32 v12, 0x4220, v4
	v_cmp_ne_u32_e64 s[10:11], 1, v2
	s_branch .LBB25_148
.LBB25_146:                             ;   in Loop: Header=BB25_148 Depth=1
	s_or_b64 exec, exec, s[18:19]
.LBB25_147:                             ;   in Loop: Header=BB25_148 Depth=1
	s_or_b64 exec, exec, s[12:13]
	s_add_i32 s35, s35, 1
	s_cmp_ge_i32 s35, s33
	v_add_u32_e32 v7, s43, v7
	s_cbranch_scc1 .LBB25_196
.LBB25_148:                             ; =>This Loop Header: Depth=1
                                        ;     Child Loop BB25_151 Depth 2
                                        ;       Child Loop BB25_154 Depth 3
                                        ;     Child Loop BB25_162 Depth 2
                                        ;       Child Loop BB25_165 Depth 3
                                        ;         Child Loop BB25_167 Depth 4
                                        ;       Child Loop BB25_170 Depth 3
                                        ;         Child Loop BB25_172 Depth 4
                                        ;     Child Loop BB25_179 Depth 2
                                        ;       Child Loop BB25_181 Depth 3
                                        ;     Child Loop BB25_189 Depth 2
                                        ;       Child Loop BB25_192 Depth 3
	s_waitcnt lgkmcnt(0)
	s_and_saveexec_b64 s[12:13], s[0:1]
	s_cbranch_execz .LBB25_158
; %bb.149:                              ;   in Loop: Header=BB25_148 Depth=1
	s_mul_i32 s40, s35, s31
	s_mov_b64 s[18:19], 0
	v_mov_b32_e32 v14, v8
	v_mov_b32_e32 v15, v7
	;; [unrolled: 1-line block ×3, first 2 shown]
	s_branch .LBB25_151
.LBB25_150:                             ;   in Loop: Header=BB25_151 Depth=2
	s_or_b64 exec, exec, s[22:23]
	v_add_u32_e32 v2, 32, v2
	v_cmp_le_i32_e32 vcc, s31, v2
	v_add_u32_e32 v15, s44, v15
	s_or_b64 s[18:19], vcc, s[18:19]
	v_add_u32_e32 v14, 0x200, v14
	s_andn2_b64 exec, exec, s[18:19]
	s_cbranch_execz .LBB25_158
.LBB25_151:                             ;   Parent Loop BB25_148 Depth=1
                                        ; =>  This Loop Header: Depth=2
                                        ;       Child Loop BB25_154 Depth 3
	s_and_saveexec_b64 s[22:23], s[4:5]
	s_cbranch_execz .LBB25_150
; %bb.152:                              ;   in Loop: Header=BB25_151 Depth=2
	s_mov_b64 s[24:25], 0
	v_mov_b32_e32 v16, v14
	v_mov_b32_e32 v17, v3
	s_branch .LBB25_154
.LBB25_153:                             ;   in Loop: Header=BB25_154 Depth=3
	v_ashrrev_i32_e32 v5, 31, v4
	v_lshl_add_u64 v[4:5], v[4:5], 4, s[20:21]
	global_load_dwordx4 v[18:21], v[4:5], off
	v_add_u32_e32 v17, 2, v17
	v_cmp_le_i32_e32 vcc, s31, v17
	s_or_b64 s[24:25], vcc, s[24:25]
	s_waitcnt vmcnt(0)
	ds_write2_b64 v16, v[18:19], v[20:21] offset1:1
	v_add_u32_e32 v16, 0x420, v16
	s_andn2_b64 exec, exec, s[24:25]
	s_cbranch_execz .LBB25_150
.LBB25_154:                             ;   Parent Loop BB25_148 Depth=1
                                        ;     Parent Loop BB25_151 Depth=2
                                        ; =>    This Inner Loop Header: Depth=3
	s_and_b64 vcc, exec, s[14:15]
	s_cbranch_vccz .LBB25_156
; %bb.155:                              ;   in Loop: Header=BB25_154 Depth=3
	v_add_u32_e32 v4, s40, v17
	v_mad_u64_u32 v[4:5], s[38:39], v4, s31, v[2:3]
	s_cbranch_execnz .LBB25_153
	s_branch .LBB25_157
.LBB25_156:                             ;   in Loop: Header=BB25_154 Depth=3
                                        ; implicit-def: $vgpr4
.LBB25_157:                             ;   in Loop: Header=BB25_154 Depth=3
	v_add_u32_e32 v4, v15, v17
	s_branch .LBB25_153
.LBB25_158:                             ;   in Loop: Header=BB25_148 Depth=1
	s_or_b64 exec, exec, s[12:13]
	s_and_b64 vcc, exec, s[6:7]
	s_waitcnt lgkmcnt(0)
	s_cbranch_vccnz .LBB25_182
; %bb.159:                              ;   in Loop: Header=BB25_148 Depth=1
	s_and_b64 vcc, exec, s[8:9]
	s_mov_b32 s24, 0
	s_cbranch_vccnz .LBB25_173
; %bb.160:                              ;   in Loop: Header=BB25_148 Depth=1
	s_mov_b32 s40, 0
	v_mov_b32_e32 v2, v12
	v_mov_b32_e32 v4, v11
	;; [unrolled: 1-line block ×4, first 2 shown]
	s_branch .LBB25_162
.LBB25_161:                             ;   in Loop: Header=BB25_162 Depth=2
	s_or_b64 exec, exec, s[18:19]
	s_add_i32 s40, s40, 2
	v_add_u32_e32 v14, 32, v14
	v_add_u32_e32 v5, 0x440, v5
	;; [unrolled: 1-line block ×4, first 2 shown]
	s_cmp_eq_u32 s40, s42
	s_mov_b32 s24, s42
	s_cbranch_scc1 .LBB25_173
.LBB25_162:                             ;   Parent Loop BB25_148 Depth=1
                                        ; =>  This Loop Header: Depth=2
                                        ;       Child Loop BB25_165 Depth 3
                                        ;         Child Loop BB25_167 Depth 4
                                        ;       Child Loop BB25_170 Depth 3
                                        ;         Child Loop BB25_172 Depth 4
	s_and_saveexec_b64 s[18:19], s[0:1]
	s_cbranch_execz .LBB25_161
; %bb.163:                              ;   in Loop: Header=BB25_162 Depth=2
	v_add_u32_e32 v15, s40, v6
	s_lshl_b32 s41, s40, 4
	v_cmp_gt_i32_e32 vcc, s31, v15
	s_mov_b64 s[22:23], 0
	s_addk_i32 s41, 0x4200
	v_mov_b32_e32 v16, v14
	v_mov_b32_e32 v17, v1
	s_branch .LBB25_165
.LBB25_164:                             ;   in Loop: Header=BB25_165 Depth=3
	s_or_b64 exec, exec, s[24:25]
	v_add_u32_e32 v17, 32, v17
	v_cmp_le_i32_e64 s[12:13], s31, v17
	s_or_b64 s[22:23], s[12:13], s[22:23]
	v_add_u32_e32 v16, 0x4200, v16
	s_andn2_b64 exec, exec, s[22:23]
	s_cbranch_execz .LBB25_168
.LBB25_165:                             ;   Parent Loop BB25_148 Depth=1
                                        ;     Parent Loop BB25_162 Depth=2
                                        ; =>    This Loop Header: Depth=3
                                        ;         Child Loop BB25_167 Depth 4
	s_and_saveexec_b64 s[24:25], vcc
	s_cbranch_execz .LBB25_164
; %bb.166:                              ;   in Loop: Header=BB25_165 Depth=3
	v_mul_lo_u32 v18, v17, s45
	v_add_u32_e32 v18, s41, v18
	s_mov_b64 s[38:39], 0
	v_mov_b32_e32 v19, v5
	v_mov_b32_e32 v20, v16
	;; [unrolled: 1-line block ×3, first 2 shown]
.LBB25_167:                             ;   Parent Loop BB25_148 Depth=1
                                        ;     Parent Loop BB25_162 Depth=2
                                        ;       Parent Loop BB25_165 Depth=3
                                        ; =>      This Inner Loop Header: Depth=4
	ds_read_b128 v[22:25], v19
	ds_read_b128 v[26:29], v18
	;; [unrolled: 1-line block ×3, first 2 shown]
	v_add_u32_e32 v21, 2, v21
	v_cmp_le_i32_e64 s[12:13], s31, v21
	s_or_b64 s[38:39], s[12:13], s[38:39]
	v_add_u32_e32 v19, 32, v19
	s_waitcnt lgkmcnt(0)
	v_fma_f64 v[30:31], -v[22:23], v[26:27], v[30:31]
	v_fma_f64 v[26:27], -v[24:25], v[26:27], v[32:33]
	v_fmac_f64_e32 v[30:31], v[24:25], v[28:29]
	v_fma_f64 v[32:33], -v[22:23], v[28:29], v[26:27]
	ds_write_b128 v20, v[30:33]
	v_add_u32_e32 v20, 32, v20
	s_andn2_b64 exec, exec, s[38:39]
	s_cbranch_execnz .LBB25_167
	s_branch .LBB25_164
.LBB25_168:                             ;   in Loop: Header=BB25_162 Depth=2
	s_or_b64 exec, exec, s[22:23]
	v_add3_u32 v15, v6, s40, 1
	v_cmp_gt_i32_e32 vcc, s31, v15
	s_mov_b64 s[22:23], 0
	v_mov_b32_e32 v16, v2
	v_mov_b32_e32 v17, v1
	s_branch .LBB25_170
.LBB25_169:                             ;   in Loop: Header=BB25_170 Depth=3
	s_or_b64 exec, exec, s[24:25]
	v_add_u32_e32 v17, 32, v17
	v_cmp_le_i32_e64 s[12:13], s31, v17
	s_or_b64 s[22:23], s[12:13], s[22:23]
	v_add_u32_e32 v16, 0x4200, v16
	s_andn2_b64 exec, exec, s[22:23]
	s_cbranch_execz .LBB25_161
.LBB25_170:                             ;   Parent Loop BB25_148 Depth=1
                                        ;     Parent Loop BB25_162 Depth=2
                                        ; =>    This Loop Header: Depth=3
                                        ;         Child Loop BB25_172 Depth 4
	s_and_saveexec_b64 s[24:25], vcc
	s_cbranch_execz .LBB25_169
; %bb.171:                              ;   in Loop: Header=BB25_170 Depth=3
	v_mul_lo_u32 v18, v17, s45
	v_add_u32_e32 v18, s41, v18
	s_mov_b64 s[38:39], 0
	v_mov_b32_e32 v19, v16
	v_mov_b32_e32 v20, v4
	;; [unrolled: 1-line block ×3, first 2 shown]
.LBB25_172:                             ;   Parent Loop BB25_148 Depth=1
                                        ;     Parent Loop BB25_162 Depth=2
                                        ;       Parent Loop BB25_170 Depth=3
                                        ; =>      This Inner Loop Header: Depth=4
	ds_read_b128 v[22:25], v20
	ds_read_b128 v[26:29], v18 offset:16
	ds_read_b128 v[30:33], v19
	v_add_u32_e32 v21, 2, v21
	v_cmp_le_i32_e64 s[12:13], s31, v21
	v_add_u32_e32 v20, 32, v20
	s_or_b64 s[38:39], s[12:13], s[38:39]
	s_waitcnt lgkmcnt(0)
	v_fma_f64 v[30:31], -v[22:23], v[26:27], v[30:31]
	v_fma_f64 v[26:27], -v[24:25], v[26:27], v[32:33]
	v_fmac_f64_e32 v[30:31], v[24:25], v[28:29]
	v_fma_f64 v[32:33], -v[22:23], v[28:29], v[26:27]
	ds_write_b128 v19, v[30:33]
	v_add_u32_e32 v19, 32, v19
	s_andn2_b64 exec, exec, s[38:39]
	s_cbranch_execnz .LBB25_172
	s_branch .LBB25_169
.LBB25_173:                             ;   in Loop: Header=BB25_148 Depth=1
	s_and_b64 vcc, exec, s[10:11]
	s_mov_b64 s[12:13], -1
	s_cbranch_vccnz .LBB25_183
; %bb.174:                              ;   in Loop: Header=BB25_148 Depth=1
	s_and_saveexec_b64 s[12:13], s[2:3]
	s_xor_b64 s[12:13], exec, s[12:13]
	s_cbranch_execz .LBB25_176
; %bb.175:                              ;   in Loop: Header=BB25_148 Depth=1
	s_waitcnt lgkmcnt(0)
.LBB25_176:                             ;   in Loop: Header=BB25_148 Depth=1
	s_or_saveexec_b64 s[18:19], s[12:13]
	s_mov_b64 s[12:13], 0
	s_xor_b64 exec, exec, s[18:19]
	s_cbranch_execz .LBB25_185
; %bb.177:                              ;   in Loop: Header=BB25_148 Depth=1
	v_add_u32_e32 v2, s24, v6
	v_add_u32_e32 v4, s24, v3
	s_mul_i32 s12, s24, 0x220
	s_lshl_b32 s40, s24, 4
	v_cmp_gt_i32_e32 vcc, s31, v2
	v_lshl_add_u32 v4, v4, 4, v13
	v_add_u32_e32 v5, s12, v10
	s_mov_b64 s[22:23], 0
	s_addk_i32 s40, 0x4200
	v_mov_b32_e32 v14, v1
	s_branch .LBB25_179
.LBB25_178:                             ;   in Loop: Header=BB25_179 Depth=2
	s_or_b64 exec, exec, s[24:25]
	v_add_u32_e32 v14, 32, v14
	v_cmp_le_i32_e64 s[12:13], s31, v14
	s_or_b64 s[22:23], s[12:13], s[22:23]
	v_add_u32_e32 v4, 0x4200, v4
	s_andn2_b64 exec, exec, s[22:23]
	s_cbranch_execz .LBB25_184
.LBB25_179:                             ;   Parent Loop BB25_148 Depth=1
                                        ; =>  This Loop Header: Depth=2
                                        ;       Child Loop BB25_181 Depth 3
	s_and_saveexec_b64 s[24:25], vcc
	s_cbranch_execz .LBB25_178
; %bb.180:                              ;   in Loop: Header=BB25_179 Depth=2
	v_mul_lo_u32 v15, v14, s45
	v_add_u32_e32 v15, s40, v15
	s_mov_b64 s[38:39], 0
	v_mov_b32_e32 v16, v5
	v_mov_b32_e32 v17, v4
	;; [unrolled: 1-line block ×3, first 2 shown]
.LBB25_181:                             ;   Parent Loop BB25_148 Depth=1
                                        ;     Parent Loop BB25_179 Depth=2
                                        ; =>    This Inner Loop Header: Depth=3
	ds_read_b128 v[20:23], v16
	ds_read_b128 v[24:27], v15
	;; [unrolled: 1-line block ×3, first 2 shown]
	v_add_u32_e32 v18, 2, v18
	v_cmp_le_i32_e64 s[12:13], s31, v18
	s_or_b64 s[38:39], s[12:13], s[38:39]
	v_add_u32_e32 v16, 32, v16
	s_waitcnt lgkmcnt(0)
	v_fma_f64 v[28:29], -v[20:21], v[24:25], v[28:29]
	v_fma_f64 v[24:25], -v[22:23], v[24:25], v[30:31]
	v_fmac_f64_e32 v[28:29], v[22:23], v[26:27]
	v_fma_f64 v[30:31], -v[20:21], v[26:27], v[24:25]
	ds_write_b128 v17, v[28:31]
	v_add_u32_e32 v17, 32, v17
	s_andn2_b64 exec, exec, s[38:39]
	s_cbranch_execnz .LBB25_181
	s_branch .LBB25_178
.LBB25_182:                             ;   in Loop: Header=BB25_148 Depth=1
	s_mov_b64 s[12:13], -1
.LBB25_183:                             ;   in Loop: Header=BB25_148 Depth=1
	s_and_saveexec_b64 s[18:19], s[12:13]
	s_xor_b64 s[12:13], exec, s[18:19]
	s_cbranch_execz .LBB25_147
	s_branch .LBB25_186
.LBB25_184:                             ;   in Loop: Header=BB25_148 Depth=1
	s_or_b64 exec, exec, s[22:23]
	s_mov_b64 s[12:13], exec
.LBB25_185:                             ;   in Loop: Header=BB25_148 Depth=1
	s_or_b64 exec, exec, s[18:19]
	s_and_saveexec_b64 s[18:19], s[12:13]
	s_xor_b64 s[12:13], exec, s[18:19]
	s_cbranch_execz .LBB25_147
.LBB25_186:                             ;   in Loop: Header=BB25_148 Depth=1
	s_waitcnt lgkmcnt(0)
	s_and_saveexec_b64 s[18:19], s[0:1]
	s_cbranch_execz .LBB25_146
; %bb.187:                              ;   in Loop: Header=BB25_148 Depth=1
	s_mul_i32 s46, s35, s31
	s_mov_b64 s[22:23], 0
	v_mov_b32_e32 v14, v8
	v_mov_b32_e32 v15, v7
	;; [unrolled: 1-line block ×3, first 2 shown]
	s_branch .LBB25_189
.LBB25_188:                             ;   in Loop: Header=BB25_189 Depth=2
	s_or_b64 exec, exec, s[24:25]
	v_add_u32_e32 v2, 32, v2
	v_cmp_le_i32_e32 vcc, s31, v2
	v_add_u32_e32 v15, s44, v15
	s_or_b64 s[22:23], vcc, s[22:23]
	v_add_u32_e32 v14, 0x200, v14
	s_andn2_b64 exec, exec, s[22:23]
	s_cbranch_execz .LBB25_146
.LBB25_189:                             ;   Parent Loop BB25_148 Depth=1
                                        ; =>  This Loop Header: Depth=2
                                        ;       Child Loop BB25_192 Depth 3
	s_and_saveexec_b64 s[24:25], s[4:5]
	s_cbranch_execz .LBB25_188
; %bb.190:                              ;   in Loop: Header=BB25_189 Depth=2
	s_mov_b64 s[38:39], 0
	v_mov_b32_e32 v16, v14
	v_mov_b32_e32 v17, v3
	s_branch .LBB25_192
.LBB25_191:                             ;   in Loop: Header=BB25_192 Depth=3
	ds_read2_b64 v[18:21], v16 offset1:1
	v_add_u32_e32 v17, 2, v17
	v_ashrrev_i32_e32 v5, 31, v4
	v_cmp_le_i32_e32 vcc, s31, v17
	v_lshl_add_u64 v[4:5], v[4:5], 4, s[20:21]
	s_or_b64 s[38:39], vcc, s[38:39]
	v_add_u32_e32 v16, 0x420, v16
	s_waitcnt lgkmcnt(0)
	global_store_dwordx4 v[4:5], v[18:21], off
	s_andn2_b64 exec, exec, s[38:39]
	s_cbranch_execz .LBB25_188
.LBB25_192:                             ;   Parent Loop BB25_148 Depth=1
                                        ;     Parent Loop BB25_189 Depth=2
                                        ; =>    This Inner Loop Header: Depth=3
	s_and_b64 vcc, exec, s[14:15]
	s_cbranch_vccz .LBB25_194
; %bb.193:                              ;   in Loop: Header=BB25_192 Depth=3
	v_add_u32_e32 v4, s46, v17
	v_mad_u64_u32 v[4:5], s[40:41], v4, s31, v[2:3]
	s_cbranch_execnz .LBB25_191
	s_branch .LBB25_195
.LBB25_194:                             ;   in Loop: Header=BB25_192 Depth=3
                                        ; implicit-def: $vgpr4
.LBB25_195:                             ;   in Loop: Header=BB25_192 Depth=3
	v_add_u32_e32 v4, v15, v17
	s_branch .LBB25_191
.LBB25_196:
	v_and_b32_e32 v0, 0xfffff, v0
	v_cmp_eq_u32_e32 vcc, 0, v0
	s_and_saveexec_b64 s[0:1], vcc
	s_cbranch_execz .LBB25_200
; %bb.197:
	s_add_u32 s0, s28, s36
	s_addc_u32 s1, s29, s37
	v_mov_b32_e32 v0, 0
	v_mov_b32_e32 v1, 1
	buffer_wbl2 sc1
	s_waitcnt vmcnt(0) lgkmcnt(0)
	global_store_dword v0, v1, s[0:1] sc1
	s_and_b64 exec, exec, s[16:17]
	s_cbranch_execz .LBB25_200
; %bb.198:
	v_mbcnt_lo_u32_b32 v0, exec_lo, 0
	v_mbcnt_hi_u32_b32 v0, exec_hi, v0
	v_cmp_eq_u32_e32 vcc, 0, v0
	s_and_b64 exec, exec, vcc
	s_cbranch_execz .LBB25_200
; %bb.199:
	s_add_i32 s0, s30, s34
	v_mov_b32_e32 v0, 0
	v_mov_b32_e32 v1, s0
	global_atomic_smin v0, v1, s[26:27]
.LBB25_200:
	s_endpgm
	.section	.rodata,"a",@progbits
	.p2align	6, 0x0
	.amdhsa_kernel _ZN9rocsparseL12bsrilu0_9_32ILj64ELj64ELj32E21rocsparse_complex_numIdEEEv20rocsparse_direction_iPKiS5_PT2_S5_iPiS5_S8_21rocsparse_index_base_imNS_24const_host_device_scalarIfEENSA_IdEENSA_IS6_EEb
		.amdhsa_group_segment_fixed_size 33792
		.amdhsa_private_segment_fixed_size 48
		.amdhsa_kernarg_size 124
		.amdhsa_user_sgpr_count 2
		.amdhsa_user_sgpr_dispatch_ptr 0
		.amdhsa_user_sgpr_queue_ptr 0
		.amdhsa_user_sgpr_kernarg_segment_ptr 1
		.amdhsa_user_sgpr_dispatch_id 0
		.amdhsa_user_sgpr_kernarg_preload_length 0
		.amdhsa_user_sgpr_kernarg_preload_offset 0
		.amdhsa_user_sgpr_private_segment_size 0
		.amdhsa_uses_dynamic_stack 0
		.amdhsa_enable_private_segment 1
		.amdhsa_system_sgpr_workgroup_id_x 1
		.amdhsa_system_sgpr_workgroup_id_y 0
		.amdhsa_system_sgpr_workgroup_id_z 0
		.amdhsa_system_sgpr_workgroup_info 0
		.amdhsa_system_vgpr_workitem_id 1
		.amdhsa_next_free_vgpr 257
		.amdhsa_next_free_sgpr 96
		.amdhsa_accum_offset 48
		.amdhsa_reserve_vcc 1
		.amdhsa_float_round_mode_32 0
		.amdhsa_float_round_mode_16_64 0
		.amdhsa_float_denorm_mode_32 3
		.amdhsa_float_denorm_mode_16_64 3
		.amdhsa_dx10_clamp 1
		.amdhsa_ieee_mode 1
		.amdhsa_fp16_overflow 0
		.amdhsa_tg_split 0
		.amdhsa_exception_fp_ieee_invalid_op 0
		.amdhsa_exception_fp_denorm_src 0
		.amdhsa_exception_fp_ieee_div_zero 0
		.amdhsa_exception_fp_ieee_overflow 0
		.amdhsa_exception_fp_ieee_underflow 0
		.amdhsa_exception_fp_ieee_inexact 0
		.amdhsa_exception_int_div_zero 0
	.end_amdhsa_kernel
	.section	.text._ZN9rocsparseL12bsrilu0_9_32ILj64ELj64ELj32E21rocsparse_complex_numIdEEEv20rocsparse_direction_iPKiS5_PT2_S5_iPiS5_S8_21rocsparse_index_base_imNS_24const_host_device_scalarIfEENSA_IdEENSA_IS6_EEb,"axG",@progbits,_ZN9rocsparseL12bsrilu0_9_32ILj64ELj64ELj32E21rocsparse_complex_numIdEEEv20rocsparse_direction_iPKiS5_PT2_S5_iPiS5_S8_21rocsparse_index_base_imNS_24const_host_device_scalarIfEENSA_IdEENSA_IS6_EEb,comdat
.Lfunc_end25:
	.size	_ZN9rocsparseL12bsrilu0_9_32ILj64ELj64ELj32E21rocsparse_complex_numIdEEEv20rocsparse_direction_iPKiS5_PT2_S5_iPiS5_S8_21rocsparse_index_base_imNS_24const_host_device_scalarIfEENSA_IdEENSA_IS6_EEb, .Lfunc_end25-_ZN9rocsparseL12bsrilu0_9_32ILj64ELj64ELj32E21rocsparse_complex_numIdEEEv20rocsparse_direction_iPKiS5_PT2_S5_iPiS5_S8_21rocsparse_index_base_imNS_24const_host_device_scalarIfEENSA_IdEENSA_IS6_EEb
                                        ; -- End function
	.set _ZN9rocsparseL12bsrilu0_9_32ILj64ELj64ELj32E21rocsparse_complex_numIdEEEv20rocsparse_direction_iPKiS5_PT2_S5_iPiS5_S8_21rocsparse_index_base_imNS_24const_host_device_scalarIfEENSA_IdEENSA_IS6_EEb.num_vgpr, 46
	.set _ZN9rocsparseL12bsrilu0_9_32ILj64ELj64ELj32E21rocsparse_complex_numIdEEEv20rocsparse_direction_iPKiS5_PT2_S5_iPiS5_S8_21rocsparse_index_base_imNS_24const_host_device_scalarIfEENSA_IdEENSA_IS6_EEb.num_agpr, 0
	.set _ZN9rocsparseL12bsrilu0_9_32ILj64ELj64ELj32E21rocsparse_complex_numIdEEEv20rocsparse_direction_iPKiS5_PT2_S5_iPiS5_S8_21rocsparse_index_base_imNS_24const_host_device_scalarIfEENSA_IdEENSA_IS6_EEb.numbered_sgpr, 61
	.set _ZN9rocsparseL12bsrilu0_9_32ILj64ELj64ELj32E21rocsparse_complex_numIdEEEv20rocsparse_direction_iPKiS5_PT2_S5_iPiS5_S8_21rocsparse_index_base_imNS_24const_host_device_scalarIfEENSA_IdEENSA_IS6_EEb.num_named_barrier, 0
	.set _ZN9rocsparseL12bsrilu0_9_32ILj64ELj64ELj32E21rocsparse_complex_numIdEEEv20rocsparse_direction_iPKiS5_PT2_S5_iPiS5_S8_21rocsparse_index_base_imNS_24const_host_device_scalarIfEENSA_IdEENSA_IS6_EEb.private_seg_size, 48
	.set _ZN9rocsparseL12bsrilu0_9_32ILj64ELj64ELj32E21rocsparse_complex_numIdEEEv20rocsparse_direction_iPKiS5_PT2_S5_iPiS5_S8_21rocsparse_index_base_imNS_24const_host_device_scalarIfEENSA_IdEENSA_IS6_EEb.uses_vcc, 1
	.set _ZN9rocsparseL12bsrilu0_9_32ILj64ELj64ELj32E21rocsparse_complex_numIdEEEv20rocsparse_direction_iPKiS5_PT2_S5_iPiS5_S8_21rocsparse_index_base_imNS_24const_host_device_scalarIfEENSA_IdEENSA_IS6_EEb.uses_flat_scratch, 0
	.set _ZN9rocsparseL12bsrilu0_9_32ILj64ELj64ELj32E21rocsparse_complex_numIdEEEv20rocsparse_direction_iPKiS5_PT2_S5_iPiS5_S8_21rocsparse_index_base_imNS_24const_host_device_scalarIfEENSA_IdEENSA_IS6_EEb.has_dyn_sized_stack, 0
	.set _ZN9rocsparseL12bsrilu0_9_32ILj64ELj64ELj32E21rocsparse_complex_numIdEEEv20rocsparse_direction_iPKiS5_PT2_S5_iPiS5_S8_21rocsparse_index_base_imNS_24const_host_device_scalarIfEENSA_IdEENSA_IS6_EEb.has_recursion, 0
	.set _ZN9rocsparseL12bsrilu0_9_32ILj64ELj64ELj32E21rocsparse_complex_numIdEEEv20rocsparse_direction_iPKiS5_PT2_S5_iPiS5_S8_21rocsparse_index_base_imNS_24const_host_device_scalarIfEENSA_IdEENSA_IS6_EEb.has_indirect_call, 0
	.section	.AMDGPU.csdata,"",@progbits
; Kernel info:
; codeLenInByte = 6128
; TotalNumSgprs: 67
; NumVgprs: 46
; NumAgprs: 0
; TotalNumVgprs: 46
; ScratchSize: 48
; MemoryBound: 0
; FloatMode: 240
; IeeeMode: 1
; LDSByteSize: 33792 bytes/workgroup (compile time only)
; SGPRBlocks: 12
; VGPRBlocks: 32
; NumSGPRsForWavesPerEU: 102
; NumVGPRsForWavesPerEU: 257
; AccumOffset: 48
; Occupancy: 1
; WaveLimiterHint : 1
; COMPUTE_PGM_RSRC2:SCRATCH_EN: 1
; COMPUTE_PGM_RSRC2:USER_SGPR: 2
; COMPUTE_PGM_RSRC2:TRAP_HANDLER: 0
; COMPUTE_PGM_RSRC2:TGID_X_EN: 1
; COMPUTE_PGM_RSRC2:TGID_Y_EN: 0
; COMPUTE_PGM_RSRC2:TGID_Z_EN: 0
; COMPUTE_PGM_RSRC2:TIDIG_COMP_CNT: 1
; COMPUTE_PGM_RSRC3_GFX90A:ACCUM_OFFSET: 11
; COMPUTE_PGM_RSRC3_GFX90A:TG_SPLIT: 0
	.section	.text._ZN9rocsparseL15bsrilu0_generalILj128ELj64ELb0E21rocsparse_complex_numIdEEEv20rocsparse_direction_iPKiS5_PT2_S5_iPiS5_S8_21rocsparse_index_base_imNS_24const_host_device_scalarIfEENSA_IdEENSA_IS6_EEb,"axG",@progbits,_ZN9rocsparseL15bsrilu0_generalILj128ELj64ELb0E21rocsparse_complex_numIdEEEv20rocsparse_direction_iPKiS5_PT2_S5_iPiS5_S8_21rocsparse_index_base_imNS_24const_host_device_scalarIfEENSA_IdEENSA_IS6_EEb,comdat
	.globl	_ZN9rocsparseL15bsrilu0_generalILj128ELj64ELb0E21rocsparse_complex_numIdEEEv20rocsparse_direction_iPKiS5_PT2_S5_iPiS5_S8_21rocsparse_index_base_imNS_24const_host_device_scalarIfEENSA_IdEENSA_IS6_EEb ; -- Begin function _ZN9rocsparseL15bsrilu0_generalILj128ELj64ELb0E21rocsparse_complex_numIdEEEv20rocsparse_direction_iPKiS5_PT2_S5_iPiS5_S8_21rocsparse_index_base_imNS_24const_host_device_scalarIfEENSA_IdEENSA_IS6_EEb
	.p2align	8
	.type	_ZN9rocsparseL15bsrilu0_generalILj128ELj64ELb0E21rocsparse_complex_numIdEEEv20rocsparse_direction_iPKiS5_PT2_S5_iPiS5_S8_21rocsparse_index_base_imNS_24const_host_device_scalarIfEENSA_IdEENSA_IS6_EEb,@function
_ZN9rocsparseL15bsrilu0_generalILj128ELj64ELb0E21rocsparse_complex_numIdEEEv20rocsparse_direction_iPKiS5_PT2_S5_iPiS5_S8_21rocsparse_index_base_imNS_24const_host_device_scalarIfEENSA_IdEENSA_IS6_EEb: ; @_ZN9rocsparseL15bsrilu0_generalILj128ELj64ELb0E21rocsparse_complex_numIdEEEv20rocsparse_direction_iPKiS5_PT2_S5_iPiS5_S8_21rocsparse_index_base_imNS_24const_host_device_scalarIfEENSA_IdEENSA_IS6_EEb
; %bb.0:
	s_load_dword s3, s[0:1], 0x78
	s_load_dwordx8 s[24:31], s[0:1], 0x50
	s_load_dwordx2 s[4:5], s[0:1], 0x70
	s_load_dwordx2 s[34:35], s[0:1], 0x48
	s_waitcnt lgkmcnt(0)
	s_bitcmp1_b32 s3, 0
	s_cselect_b64 s[6:7], -1, 0
	v_mov_b64_e32 v[2:3], s[30:31]
	s_cmp_eq_u32 s35, 0
	s_cselect_b64 s[14:15], -1, 0
	s_cmp_lg_u32 s35, 0
	s_cselect_b64 s[8:9], -1, 0
	s_or_b64 s[16:17], s[14:15], s[6:7]
	s_xor_b64 s[10:11], s[16:17], -1
	s_and_b64 s[12:13], s[14:15], exec
	s_cselect_b32 s13, 0, s29
	s_cselect_b32 s12, 0, s28
	s_and_b64 vcc, exec, s[16:17]
	scratch_store_dwordx2 off, v[2:3], off offset:32
	s_cbranch_vccnz .LBB26_2
; %bb.1:
	s_load_dword s3, s[26:27], 0x0
	s_mov_b64 s[12:13], s[28:29]
	s_waitcnt lgkmcnt(0)
	v_mov_b32_e32 v33, s3
	s_andn2_b64 vcc, exec, s[10:11]
	v_mov_b64_e32 v[22:23], s[12:13]
	s_cbranch_vccz .LBB26_3
	s_branch .LBB26_4
.LBB26_2:
	v_mov_b32_e32 v1, s26
	v_cndmask_b32_e64 v33, v1, 0, s[14:15]
	s_andn2_b64 vcc, exec, s[10:11]
	v_mov_b64_e32 v[22:23], s[12:13]
	s_cbranch_vccnz .LBB26_4
.LBB26_3:
	v_mov_b64_e32 v[2:3], s[28:29]
	flat_load_dwordx2 v[22:23], v[2:3]
.LBB26_4:
	v_cndmask_b32_e64 v1, 0, 1, s[8:9]
	v_mov_b64_e32 v[2:3], 0
	v_cmp_ne_u32_e64 s[14:15], 1, v1
	s_andn2_b64 vcc, exec, s[8:9]
	v_mov_b64_e32 v[4:5], 0
	s_cbranch_vccnz .LBB26_7
; %bb.5:
	s_xor_b64 s[10:11], s[6:7], -1
	s_mov_b64 s[8:9], src_private_base
	s_and_b64 s[6:7], s[6:7], exec
	s_cselect_b32 s3, s9, s31
	s_cselect_b32 s6, 32, s30
	v_mov_b32_e32 v2, s6
	v_mov_b32_e32 v3, s3
	flat_load_dwordx2 v[2:3], v[2:3]
	s_andn2_b64 vcc, exec, s[10:11]
	v_mov_b64_e32 v[4:5], s[4:5]
	s_cbranch_vccnz .LBB26_7
; %bb.6:
	v_mov_b64_e32 v[4:5], s[30:31]
	flat_load_dwordx2 v[4:5], v[4:5] offset:8
.LBB26_7:
	s_load_dwordx2 s[36:37], s[0:1], 0x0
	s_lshl_b32 s2, s2, 1
	v_lshrrev_b32_e32 v1, 6, v0
	s_and_b32 s2, s2, 0x3fffffe
	v_or_b32_e32 v1, s2, v1
	s_waitcnt lgkmcnt(0)
	v_cmp_gt_i32_e32 vcc, s37, v1
	s_waitcnt vmcnt(0)
	scratch_store_dwordx4 off, v[2:5], off
	s_and_saveexec_b64 s[2:3], vcc
	s_cbranch_execz .LBB26_146
; %bb.8:
	s_load_dwordx4 s[28:31], s[0:1], 0x30
	s_load_dwordx2 s[26:27], s[0:1], 0x40
	v_lshlrev_b32_e32 v1, 2, v1
	s_load_dwordx8 s[16:23], s[0:1], 0x8
	v_and_b32_e32 v18, 63, v0
	s_waitcnt lgkmcnt(0)
	global_load_dword v16, v1, s[30:31]
	s_mov_b64 s[2:3], -1
	s_waitcnt vmcnt(0)
	v_ashrrev_i32_e32 v17, 31, v16
	v_lshl_add_u64 v[2:3], v[16:17], 2, s[22:23]
	global_load_dword v20, v[2:3], off
	s_waitcnt vmcnt(0)
	v_cmp_ne_u32_e32 vcc, -1, v20
	s_and_saveexec_b64 s[30:31], vcc
	s_cbranch_execz .LBB26_140
; %bb.9:
	v_lshl_add_u64 v[0:1], v[16:17], 2, s[16:17]
	global_load_dwordx2 v[0:1], v[0:1], off
	s_load_dword s33, s[0:1], 0x28
	s_mov_b64 s[6:7], 0
	s_waitcnt vmcnt(0)
	v_subrev_u32_e32 v24, s34, v0
	v_subrev_u32_e32 v19, s34, v1
	v_cmp_lt_i32_e32 vcc, v24, v20
	s_and_saveexec_b64 s[38:39], vcc
	s_cbranch_execz .LBB26_75
; %bb.10:
	s_waitcnt lgkmcnt(0)
	s_cmp_gt_i32 s33, 0
	s_cselect_b64 s[0:1], -1, 0
	v_mad_u64_u32 v[0:1], s[8:9], s33, v24, v[18:19]
	v_add_u32_e32 v26, v24, v18
	v_mul_lo_u32 v21, s33, v0
	v_cndmask_b32_e64 v0, 0, 1, s[0:1]
	s_cmp_lg_u32 s36, 0
	v_ashrrev_i32_e32 v27, 31, v26
	v_cmp_ne_u32_e64 s[8:9], 1, v0
	v_mbcnt_lo_u32_b32 v0, -1, 0
	s_cselect_b64 s[40:41], -1, 0
	v_cmp_gt_i32_e64 s[2:3], s33, v18
	v_cmp_le_i32_e64 s[4:5], s33, v18
	v_cmp_lt_i32_e64 s[6:7], v26, v19
	s_add_i32 s35, s37, 1
	v_lshl_add_u64 v[28:29], v[26:27], 2, s[18:19]
	s_mul_i32 s37, s33, s33
	s_add_i32 s60, s33, 1
	v_add_u32_e32 v27, 1, v21
	s_lshl_b32 s61, s33, 6
	s_add_i32 s62, s33, -1
	s_mov_b64 s[48:49], 0
	s_mov_b64 s[42:43], 0
	v_mbcnt_hi_u32_b32 v37, -1, v0
                                        ; implicit-def: $sgpr44_sgpr45
                                        ; implicit-def: $sgpr46_sgpr47
	s_branch .LBB26_13
.LBB26_11:                              ;   in Loop: Header=BB26_13 Depth=1
	s_or_b64 exec, exec, s[0:1]
	s_andn2_b64 s[0:1], s[46:47], exec
	s_and_b64 s[12:13], s[48:49], exec
	s_or_b64 s[46:47], s[0:1], s[12:13]
.LBB26_12:                              ;   in Loop: Header=BB26_13 Depth=1
	s_or_b64 exec, exec, s[50:51]
	v_add_u32_e32 v24, 1, v24
	v_cmp_ge_i32_e32 vcc, v24, v20
	s_xor_b64 s[0:1], s[10:11], -1
	s_or_b64 s[0:1], s[0:1], vcc
	s_and_b64 s[0:1], exec, s[0:1]
	s_or_b64 s[42:43], s[0:1], s[42:43]
	s_andn2_b64 s[0:1], s[44:45], exec
	s_and_b64 s[10:11], s[46:47], exec
	v_add_u32_e32 v27, s37, v27
	v_add_u32_e32 v21, s37, v21
	s_or_b64 s[44:45], s[0:1], s[10:11]
	s_mov_b64 s[48:49], s[46:47]
	s_andn2_b64 exec, exec, s[42:43]
	s_cbranch_execz .LBB26_74
.LBB26_13:                              ; =>This Loop Header: Depth=1
                                        ;     Child Loop BB26_16 Depth 2
                                        ;     Child Loop BB26_21 Depth 2
                                        ;       Child Loop BB26_26 Depth 3
                                        ;         Child Loop BB26_35 Depth 4
                                        ;     Child Loop BB26_48 Depth 2
                                        ;       Child Loop BB26_53 Depth 3
                                        ;       Child Loop BB26_60 Depth 3
                                        ;         Child Loop BB26_62 Depth 4
                                        ;           Child Loop BB26_64 Depth 5
	v_ashrrev_i32_e32 v25, 31, v24
	s_waitcnt lgkmcnt(0)
	v_lshl_add_u64 v[0:1], v[24:25], 2, s[18:19]
	global_load_dword v0, v[0:1], off
	s_or_b64 s[46:47], s[46:47], exec
	s_waitcnt vmcnt(0)
	v_subrev_u32_e32 v0, s34, v0
	v_ashrrev_i32_e32 v1, 31, v0
	v_lshl_add_u64 v[2:3], v[0:1], 2, s[22:23]
	global_load_dword v40, v[2:3], off
	s_waitcnt vmcnt(0)
	v_cmp_ne_u32_e64 s[10:11], -1, v40
	s_and_saveexec_b64 s[50:51], s[10:11]
	s_cbranch_execz .LBB26_12
; %bb.14:                               ;   in Loop: Header=BB26_13 Depth=1
	v_lshlrev_b64 v[0:1], 2, v[0:1]
	v_lshl_add_u64 v[2:3], s[16:17], 0, v[0:1]
	v_lshl_add_u64 v[0:1], s[28:29], 0, v[0:1]
	global_load_dword v41, v[2:3], off offset:4
	s_nop 0
	global_load_dword v2, v[0:1], off sc1
	s_waitcnt vmcnt(0)
	v_cmp_eq_u32_e32 vcc, 0, v2
	s_and_saveexec_b64 s[0:1], vcc
	s_cbranch_execz .LBB26_17
; %bb.15:                               ;   in Loop: Header=BB26_13 Depth=1
	s_mov_b64 s[12:13], 0
.LBB26_16:                              ;   Parent Loop BB26_13 Depth=1
                                        ; =>  This Inner Loop Header: Depth=2
	global_load_dword v2, v[0:1], off sc1
	s_waitcnt vmcnt(0)
	v_cmp_ne_u32_e32 vcc, 0, v2
	s_or_b64 s[12:13], vcc, s[12:13]
	s_andn2_b64 exec, exec, s[12:13]
	s_cbranch_execnz .LBB26_16
.LBB26_17:                              ;   in Loop: Header=BB26_13 Depth=1
	s_or_b64 exec, exec, s[0:1]
	s_and_b64 vcc, exec, s[8:9]
	v_mul_lo_u32 v25, v24, s33
	buffer_inv sc1
	s_cbranch_vccnz .LBB26_44
; %bb.18:                               ;   in Loop: Header=BB26_13 Depth=1
	v_mad_u64_u32 v[30:31], s[0:1], s37, v40, 1
	v_mul_lo_u32 v42, v40, s33
	v_mov_b32_e32 v32, 0
	s_mov_b64 s[52:53], 0
	s_mov_b32 s63, s62
	v_mov_b32_e32 v31, v27
	s_branch .LBB26_21
.LBB26_19:                              ;   in Loop: Header=BB26_21 Depth=2
	s_or_b64 exec, exec, s[56:57]
	v_mov_b32_e32 v32, v43
.LBB26_20:                              ;   in Loop: Header=BB26_21 Depth=2
	s_or_b64 exec, exec, s[54:55]
	s_add_i32 s63, s63, -1
	v_cmp_eq_u32_e32 vcc, s33, v32
	v_add_u32_e32 v30, s60, v30
	s_or_b64 s[52:53], vcc, s[52:53]
	v_add_u32_e32 v31, 1, v31
	s_andn2_b64 exec, exec, s[52:53]
	s_cbranch_execz .LBB26_43
.LBB26_21:                              ;   Parent Loop BB26_13 Depth=1
                                        ; =>  This Loop Header: Depth=2
                                        ;       Child Loop BB26_26 Depth 3
                                        ;         Child Loop BB26_35 Depth 4
	v_add_u32_e32 v43, 1, v32
	s_and_saveexec_b64 s[0:1], s[4:5]
	s_xor_b64 s[0:1], exec, s[0:1]
; %bb.22:                               ;   in Loop: Header=BB26_21 Depth=2
	v_add_u32_e32 v32, 1, v32
                                        ; implicit-def: $vgpr43
; %bb.23:                               ;   in Loop: Header=BB26_21 Depth=2
	s_andn2_saveexec_b64 s[54:55], s[0:1]
	s_cbranch_execz .LBB26_20
; %bb.24:                               ;   in Loop: Header=BB26_21 Depth=2
	v_add_u32_e32 v0, v32, v42
	v_mad_u64_u32 v[0:1], s[0:1], v0, s33, v[32:33]
	v_ashrrev_i32_e32 v1, 31, v0
	v_lshl_add_u64 v[0:1], v[0:1], 4, s[20:21]
	global_load_dwordx4 v[0:3], v[0:1], off
	v_add_u32_e32 v10, v32, v25
	v_mul_lo_u32 v45, v10, s33
	v_cmp_gt_i32_e64 s[12:13], s33, v43
	s_mov_b64 s[56:57], 0
	v_mov_b32_e32 v44, v31
	v_mov_b32_e32 v36, v18
	s_waitcnt vmcnt(0)
	v_mul_f64 v[4:5], v[2:3], v[2:3]
	v_fmac_f64_e32 v[4:5], v[0:1], v[0:1]
	v_div_scale_f64 v[6:7], s[0:1], v[4:5], v[4:5], 1.0
	v_rcp_f64_e32 v[8:9], v[6:7]
	v_div_scale_f64 v[10:11], vcc, 1.0, v[4:5], 1.0
	v_fma_f64 v[12:13], -v[6:7], v[8:9], 1.0
	v_fmac_f64_e32 v[8:9], v[8:9], v[12:13]
	v_fma_f64 v[12:13], -v[6:7], v[8:9], 1.0
	v_fmac_f64_e32 v[8:9], v[8:9], v[12:13]
	v_mul_f64 v[12:13], v[10:11], v[8:9]
	v_fma_f64 v[6:7], -v[6:7], v[12:13], v[10:11]
	v_div_fmas_f64 v[6:7], v[6:7], v[8:9], v[12:13]
	v_div_fixup_f64 v[34:35], v[6:7], v[4:5], 1.0
	s_branch .LBB26_26
.LBB26_25:                              ;   in Loop: Header=BB26_26 Depth=3
	s_or_b64 exec, exec, s[58:59]
	v_add_u32_e32 v36, 64, v36
	v_cmp_le_i32_e32 vcc, s33, v36
	s_or_b64 s[56:57], vcc, s[56:57]
	v_add_u32_e32 v44, s61, v44
	s_andn2_b64 exec, exec, s[56:57]
	s_cbranch_execz .LBB26_19
.LBB26_26:                              ;   Parent Loop BB26_13 Depth=1
                                        ;     Parent Loop BB26_21 Depth=2
                                        ; =>    This Loop Header: Depth=3
                                        ;         Child Loop BB26_35 Depth 4
	s_and_b64 vcc, exec, s[40:41]
	v_add_u32_e32 v10, v36, v45
	s_cbranch_vccz .LBB26_41
; %bb.27:                               ;   in Loop: Header=BB26_26 Depth=3
	v_add_u32_e32 v4, v36, v45
	v_add_u32_e32 v11, v36, v25
	s_cbranch_execnz .LBB26_29
.LBB26_28:                              ;   in Loop: Header=BB26_26 Depth=3
	v_mad_u64_u32 v[4:5], s[0:1], v11, s33, v[32:33]
.LBB26_29:                              ;   in Loop: Header=BB26_26 Depth=3
	v_ashrrev_i32_e32 v5, 31, v4
	v_lshl_add_u64 v[4:5], v[4:5], 4, s[20:21]
	global_load_dwordx4 v[6:9], v[4:5], off
	s_and_b64 vcc, exec, s[40:41]
	s_cbranch_vccz .LBB26_42
; %bb.30:                               ;   in Loop: Header=BB26_26 Depth=3
	s_cbranch_execnz .LBB26_32
.LBB26_31:                              ;   in Loop: Header=BB26_26 Depth=3
	v_mad_u64_u32 v[10:11], s[0:1], v11, s33, v[32:33]
.LBB26_32:                              ;   in Loop: Header=BB26_26 Depth=3
	s_waitcnt vmcnt(0)
	v_mul_f64 v[4:5], v[2:3], v[8:9]
	v_fmac_f64_e32 v[4:5], v[6:7], v[0:1]
	v_mul_f64 v[6:7], v[2:3], -v[6:7]
	v_fmac_f64_e32 v[6:7], v[8:9], v[0:1]
	v_ashrrev_i32_e32 v11, 31, v10
	v_mul_f64 v[4:5], v[34:35], v[4:5]
	v_mul_f64 v[6:7], v[34:35], v[6:7]
	v_lshl_add_u64 v[8:9], v[10:11], 4, s[20:21]
	global_store_dwordx4 v[8:9], v[4:7], off
	s_and_saveexec_b64 s[58:59], s[12:13]
	s_cbranch_execz .LBB26_25
; %bb.33:                               ;   in Loop: Header=BB26_26 Depth=3
	s_mov_b32 s64, s63
	v_mov_b32_e32 v46, v44
	v_mov_b32_e32 v47, v30
	;; [unrolled: 1-line block ×3, first 2 shown]
	s_branch .LBB26_35
.LBB26_34:                              ;   in Loop: Header=BB26_35 Depth=4
	s_waitcnt vmcnt(0)
	v_fma_f64 v[12:13], -v[4:5], v[8:9], v[12:13]
	v_fma_f64 v[8:9], -v[6:7], v[8:9], v[14:15]
	v_ashrrev_i32_e32 v39, 31, v38
	s_add_i32 s64, s64, -1
	v_fmac_f64_e32 v[12:13], v[6:7], v[10:11]
	v_fma_f64 v[14:15], -v[4:5], v[10:11], v[8:9]
	v_lshl_add_u64 v[8:9], v[38:39], 4, s[20:21]
	v_add_u32_e32 v48, 1, v48
	v_add_u32_e32 v47, 1, v47
	s_cmp_eq_u32 s64, 0
	v_add_u32_e32 v46, 1, v46
	global_store_dwordx4 v[8:9], v[12:15], off
	s_cbranch_scc1 .LBB26_25
.LBB26_35:                              ;   Parent Loop BB26_13 Depth=1
                                        ;     Parent Loop BB26_21 Depth=2
                                        ;       Parent Loop BB26_26 Depth=3
                                        ; =>      This Inner Loop Header: Depth=4
	v_cndmask_b32_e64 v8, 0, 1, s[40:41]
	v_cmp_ne_u32_e64 s[0:1], 1, v8
	s_andn2_b64 vcc, exec, s[40:41]
	v_mov_b32_e32 v8, v47
	s_cbranch_vccnz .LBB26_37
; %bb.36:                               ;   in Loop: Header=BB26_35 Depth=4
	v_add_u32_e32 v8, v48, v42
	v_mad_u64_u32 v[8:9], s[66:67], v8, s33, v[32:33]
.LBB26_37:                              ;   in Loop: Header=BB26_35 Depth=4
	v_ashrrev_i32_e32 v9, 31, v8
	v_lshl_add_u64 v[8:9], v[8:9], 4, s[20:21]
	global_load_dwordx4 v[8:11], v[8:9], off
	s_and_b64 vcc, exec, s[0:1]
	v_add_u32_e32 v39, v48, v25
	v_mov_b32_e32 v12, v46
	s_cbranch_vccnz .LBB26_39
; %bb.38:                               ;   in Loop: Header=BB26_35 Depth=4
	v_mad_u64_u32 v[12:13], s[66:67], v39, s33, v[36:37]
.LBB26_39:                              ;   in Loop: Header=BB26_35 Depth=4
	v_ashrrev_i32_e32 v13, 31, v12
	v_lshl_add_u64 v[12:13], v[12:13], 4, s[20:21]
	global_load_dwordx4 v[12:15], v[12:13], off
	s_and_b64 vcc, exec, s[0:1]
	v_mov_b32_e32 v38, v46
	s_cbranch_vccnz .LBB26_34
; %bb.40:                               ;   in Loop: Header=BB26_35 Depth=4
	v_mad_u64_u32 v[38:39], s[0:1], v39, s33, v[36:37]
	s_branch .LBB26_34
.LBB26_41:                              ;   in Loop: Header=BB26_26 Depth=3
                                        ; implicit-def: $vgpr4
	v_add_u32_e32 v11, v36, v25
	s_branch .LBB26_28
.LBB26_42:                              ;   in Loop: Header=BB26_26 Depth=3
                                        ; implicit-def: $vgpr10
	s_branch .LBB26_31
.LBB26_43:                              ;   in Loop: Header=BB26_13 Depth=1
	s_or_b64 exec, exec, s[52:53]
.LBB26_44:                              ;   in Loop: Header=BB26_13 Depth=1
	v_subrev_u32_e32 v7, s34, v41
	v_add_u32_e32 v4, 1, v40
	v_cmp_lt_i32_e32 vcc, v4, v7
	s_and_saveexec_b64 s[0:1], vcc
	s_cbranch_execz .LBB26_11
; %bb.45:                               ;   in Loop: Header=BB26_13 Depth=1
	v_mul_lo_u32 v14, s37, v4
	s_mov_b64 s[12:13], 0
	s_branch .LBB26_48
.LBB26_46:                              ;   in Loop: Header=BB26_48 Depth=2
	s_or_b64 exec, exec, s[52:53]
.LBB26_47:                              ;   in Loop: Header=BB26_48 Depth=2
	v_add_u32_e32 v4, 1, v4
	v_cmp_ge_i32_e32 vcc, v4, v7
	s_or_b64 s[12:13], vcc, s[12:13]
	v_add_u32_e32 v14, s37, v14
	s_andn2_b64 exec, exec, s[12:13]
	s_cbranch_execz .LBB26_11
.LBB26_48:                              ;   Parent Loop BB26_13 Depth=1
                                        ; =>  This Loop Header: Depth=2
                                        ;       Child Loop BB26_53 Depth 3
                                        ;       Child Loop BB26_60 Depth 3
                                        ;         Child Loop BB26_62 Depth 4
                                        ;           Child Loop BB26_64 Depth 5
	v_ashrrev_i32_e32 v5, 31, v4
	s_waitcnt lgkmcnt(0)
	v_lshl_add_u64 v[0:1], v[4:5], 2, s[18:19]
	global_load_dword v0, v[0:1], off
	v_mov_b32_e32 v1, s35
	s_and_saveexec_b64 s[52:53], s[6:7]
	s_cbranch_execz .LBB26_50
; %bb.49:                               ;   in Loop: Header=BB26_48 Depth=2
	global_load_dword v1, v[28:29], off
	s_waitcnt vmcnt(0)
	v_subrev_u32_e32 v1, s34, v1
.LBB26_50:                              ;   in Loop: Header=BB26_48 Depth=2
	s_or_b64 exec, exec, s[52:53]
	s_waitcnt vmcnt(0)
	v_subrev_u32_e32 v2, s34, v0
	v_cmp_lt_i32_e32 vcc, v1, v2
	v_mov_b32_e32 v3, v26
	s_and_saveexec_b64 s[52:53], vcc
	s_cbranch_execz .LBB26_56
; %bb.51:                               ;   in Loop: Header=BB26_48 Depth=2
	s_mov_b64 s[54:55], 0
	v_mov_b32_e32 v0, v26
	s_branch .LBB26_53
.LBB26_52:                              ;   in Loop: Header=BB26_53 Depth=3
	s_or_b64 exec, exec, s[56:57]
	v_cmp_ge_i32_e32 vcc, v1, v2
	s_or_b64 s[54:55], vcc, s[54:55]
	v_mov_b32_e32 v0, v3
	s_andn2_b64 exec, exec, s[54:55]
	s_cbranch_execz .LBB26_55
.LBB26_53:                              ;   Parent Loop BB26_13 Depth=1
                                        ;     Parent Loop BB26_48 Depth=2
                                        ; =>    This Inner Loop Header: Depth=3
	v_add_u32_e32 v3, 64, v0
	v_cmp_lt_i32_e32 vcc, v3, v19
	v_mov_b32_e32 v1, s35
	s_and_saveexec_b64 s[56:57], vcc
	s_cbranch_execz .LBB26_52
; %bb.54:                               ;   in Loop: Header=BB26_53 Depth=3
	v_ashrrev_i32_e32 v1, 31, v0
	v_lshl_add_u64 v[0:1], v[0:1], 2, s[18:19]
	global_load_dword v0, v[0:1], off offset:256
	s_waitcnt vmcnt(0)
	v_subrev_u32_e32 v1, s34, v0
	s_branch .LBB26_52
.LBB26_55:                              ;   in Loop: Header=BB26_48 Depth=2
	s_or_b64 exec, exec, s[54:55]
.LBB26_56:                              ;   in Loop: Header=BB26_48 Depth=2
	s_or_b64 exec, exec, s[52:53]
	v_cmp_eq_u32_e32 vcc, v1, v2
	s_cbranch_vccz .LBB26_47
; %bb.57:                               ;   in Loop: Header=BB26_48 Depth=2
	s_ff1_i32_b64 s52, vcc
	v_and_or_b32 v0, v37, 64, s52
	v_lshlrev_b32_e32 v0, 2, v0
	ds_bpermute_b32 v0, v0, v3
	s_and_saveexec_b64 s[52:53], s[2:3]
	s_cbranch_execz .LBB26_46
; %bb.58:                               ;   in Loop: Header=BB26_48 Depth=2
	v_mul_lo_u32 v5, v4, s33
	s_waitcnt lgkmcnt(0)
	v_mul_lo_u32 v15, v0, s33
	s_mov_b64 s[54:55], 0
	v_mov_b32_e32 v30, v21
	v_mov_b32_e32 v6, v18
	s_branch .LBB26_60
.LBB26_59:                              ;   in Loop: Header=BB26_60 Depth=3
	v_add_u32_e32 v6, 64, v6
	v_cmp_le_i32_e32 vcc, s33, v6
	s_or_b64 s[54:55], vcc, s[54:55]
	v_add_u32_e32 v30, s61, v30
	s_andn2_b64 exec, exec, s[54:55]
	s_cbranch_execz .LBB26_46
.LBB26_60:                              ;   Parent Loop BB26_13 Depth=1
                                        ;     Parent Loop BB26_48 Depth=2
                                        ; =>    This Loop Header: Depth=3
                                        ;         Child Loop BB26_62 Depth 4
                                        ;           Child Loop BB26_64 Depth 5
	v_add_u32_e32 v0, v6, v15
	v_mul_lo_u32 v31, v0, s33
	s_mov_b32 s58, 0
	v_mov_b32_e32 v32, v14
	s_branch .LBB26_62
.LBB26_61:                              ;   in Loop: Header=BB26_62 Depth=4
	v_ashrrev_i32_e32 v1, 31, v0
	v_lshl_add_u64 v[12:13], v[0:1], 4, s[20:21]
	global_load_dwordx4 v[0:3], v[12:13], off
	s_add_i32 s58, s58, 1
	s_cmp_eq_u32 s58, s33
	v_add_u32_e32 v32, 1, v32
	s_waitcnt vmcnt(0)
	v_add_f64 v[0:1], v[0:1], -v[8:9]
	v_add_f64 v[2:3], v[2:3], -v[10:11]
	global_store_dwordx4 v[12:13], v[0:3], off
	s_cbranch_scc1 .LBB26_59
.LBB26_62:                              ;   Parent Loop BB26_13 Depth=1
                                        ;     Parent Loop BB26_48 Depth=2
                                        ;       Parent Loop BB26_60 Depth=3
                                        ; =>      This Loop Header: Depth=4
                                        ;           Child Loop BB26_64 Depth 5
	s_nop 0
	v_add_u32_e32 v0, s58, v5
	v_mul_lo_u32 v34, v0, s33
	v_mov_b64_e32 v[8:9], 0
	v_mov_b32_e32 v35, v32
	s_mov_b32 s59, 0
	v_mov_b64_e32 v[10:11], 0
	s_branch .LBB26_64
.LBB26_63:                              ;   in Loop: Header=BB26_64 Depth=5
	v_ashrrev_i32_e32 v13, 31, v12
	v_lshl_add_u64 v[12:13], v[12:13], 4, s[20:21]
	global_load_dwordx4 v[38:41], v[12:13], off
	s_add_i32 s59, s59, 1
	s_cmp_eq_u32 s33, s59
	v_add_u32_e32 v35, s33, v35
	s_waitcnt vmcnt(0)
	v_fmac_f64_e32 v[8:9], v[0:1], v[38:39]
	v_fmac_f64_e32 v[10:11], v[2:3], v[38:39]
	v_fma_f64 v[8:9], -v[2:3], v[40:41], v[8:9]
	v_fmac_f64_e32 v[10:11], v[0:1], v[40:41]
	s_cbranch_scc1 .LBB26_70
.LBB26_64:                              ;   Parent Loop BB26_13 Depth=1
                                        ;     Parent Loop BB26_48 Depth=2
                                        ;       Parent Loop BB26_60 Depth=3
                                        ;         Parent Loop BB26_62 Depth=4
                                        ; =>        This Inner Loop Header: Depth=5
	s_and_b64 vcc, exec, s[40:41]
	s_cbranch_vccz .LBB26_69
; %bb.65:                               ;   in Loop: Header=BB26_64 Depth=5
	v_add_u32_e32 v0, s59, v25
	v_mad_u64_u32 v[0:1], s[56:57], v0, s33, v[6:7]
	s_cbranch_execnz .LBB26_67
.LBB26_66:                              ;   in Loop: Header=BB26_64 Depth=5
	v_add_u32_e32 v0, s59, v30
.LBB26_67:                              ;   in Loop: Header=BB26_64 Depth=5
	v_ashrrev_i32_e32 v1, 31, v0
	v_lshl_add_u64 v[0:1], v[0:1], 4, s[20:21]
	global_load_dwordx4 v[0:3], v[0:1], off
	s_andn2_b64 vcc, exec, s[40:41]
	v_mov_b32_e32 v12, v35
	s_cbranch_vccnz .LBB26_63
; %bb.68:                               ;   in Loop: Header=BB26_64 Depth=5
	v_add_u32_e32 v12, s59, v34
	s_branch .LBB26_63
.LBB26_69:                              ;   in Loop: Header=BB26_64 Depth=5
                                        ; implicit-def: $vgpr0
	s_branch .LBB26_66
.LBB26_70:                              ;   in Loop: Header=BB26_62 Depth=4
	s_and_b64 vcc, exec, s[40:41]
	s_cbranch_vccz .LBB26_72
; %bb.71:                               ;   in Loop: Header=BB26_62 Depth=4
	v_add_u32_e32 v0, s58, v15
	v_mad_u64_u32 v[0:1], s[56:57], v0, s33, v[6:7]
	s_cbranch_execnz .LBB26_61
	s_branch .LBB26_73
.LBB26_72:                              ;   in Loop: Header=BB26_62 Depth=4
                                        ; implicit-def: $vgpr0
.LBB26_73:                              ;   in Loop: Header=BB26_62 Depth=4
	v_add_u32_e32 v0, s58, v31
	s_branch .LBB26_61
.LBB26_74:
	s_or_b64 exec, exec, s[42:43]
	s_and_b64 s[6:7], s[44:45], exec
.LBB26_75:
	s_or_b64 exec, exec, s[38:39]
	v_ashrrev_i32_e32 v21, 31, v20
	s_waitcnt lgkmcnt(0)
	v_lshl_add_u64 v[0:1], v[20:21], 2, s[18:19]
	global_load_dword v0, v[0:1], off
	s_cmp_gt_i32 s33, 0
	s_cselect_b64 s[8:9], -1, 0
	s_waitcnt vmcnt(0)
	v_subrev_u32_e32 v0, s34, v0
	v_cmp_eq_u32_e32 vcc, v0, v16
	s_and_b64 s[0:1], s[8:9], vcc
	s_and_saveexec_b64 s[10:11], s[0:1]
	s_cbranch_execz .LBB26_115
; %bb.76:
	s_cmp_eq_u64 s[24:25], 8
	v_cvt_f64_f32_e32 v[0:1], v33
	s_cselect_b64 vcc, -1, 0
	v_mul_lo_u32 v21, v20, s33
	v_cndmask_b32_e32 v22, v0, v22, vcc
	s_cmp_lg_u32 s36, 0
	s_mul_i32 s0, s33, s33
	v_add_u32_e32 v0, v21, v18
	s_cselect_b64 s[12:13], -1, 0
	v_mad_u64_u32 v[24:25], s[0:1], v20, s0, 1
	s_add_i32 s35, s33, 1
	v_mul_lo_u32 v0, s33, v0
	s_mov_b32 s18, 0
	v_cndmask_b32_e32 v23, v1, v23, vcc
	v_cmp_eq_u32_e64 s[2:3], 0, v18
	v_add_u32_e32 v25, s35, v0
	s_lshl_b32 s37, s33, 6
	s_add_i32 s48, s33, -1
	v_mov_b32_e32 v26, 0
	s_mov_b64 s[16:17], 0
	s_brev_b32 s19, 8
	v_mov_b32_e32 v27, 0x260
	v_mov_b32_e32 v29, 0x100
	;; [unrolled: 1-line block ×5, first 2 shown]
	s_mov_b64 s[24:25], s[6:7]
                                        ; implicit-def: $sgpr22_sgpr23
	s_branch .LBB26_78
.LBB26_77:                              ;   in Loop: Header=BB26_78 Depth=1
	s_or_b64 exec, exec, s[0:1]
	s_add_i32 s48, s48, -1
	v_cmp_eq_u32_e32 vcc, s33, v38
	s_or_b64 s[16:17], vcc, s[16:17]
	s_andn2_b64 s[0:1], s[22:23], exec
	s_and_b64 s[4:5], s[24:25], exec
	v_add_u32_e32 v24, s35, v24
	v_add_u32_e32 v25, s35, v25
	s_or_b64 s[22:23], s[0:1], s[4:5]
	v_mov_b32_e32 v26, v38
	s_andn2_b64 exec, exec, s[16:17]
	s_cbranch_execz .LBB26_114
.LBB26_78:                              ; =>This Loop Header: Depth=1
                                        ;     Child Loop BB26_94 Depth 2
                                        ;       Child Loop BB26_103 Depth 3
	v_add_u32_e32 v0, v26, v21
	v_mul_lo_u32 v37, v0, s33
	v_add_u32_e32 v0, v37, v26
	v_ashrrev_i32_e32 v1, 31, v0
	v_lshl_add_u64 v[4:5], v[0:1], 4, s[20:21]
	global_load_dwordx4 v[0:3], v[4:5], off
	s_mov_b64 s[0:1], -1
	s_and_b64 vcc, exec, s[14:15]
	s_mov_b64 s[4:5], 0
	s_waitcnt vmcnt(0)
	scratch_store_dwordx4 off, v[0:3], off offset:16
	s_cbranch_vccz .LBB26_81
; %bb.79:                               ;   in Loop: Header=BB26_78 Depth=1
	s_mov_b64 s[38:39], 0
	s_and_b64 vcc, exec, s[0:1]
	s_cbranch_vccnz .LBB26_90
.LBB26_80:                              ;   in Loop: Header=BB26_78 Depth=1
                                        ; implicit-def: $vgpr38
	s_and_saveexec_b64 s[0:1], s[4:5]
	s_xor_b64 s[40:41], exec, s[0:1]
	s_cbranch_execnz .LBB26_91
	s_branch .LBB26_112
.LBB26_81:                              ;   in Loop: Header=BB26_78 Depth=1
	v_xor_b32_e32 v6, 0x80000000, v1
	v_cmp_gt_f64_e32 vcc, 0, v[0:1]
	v_xor_b32_e32 v8, 0x80000000, v3
                                        ; implicit-def: $vgpr10_vgpr11
	s_nop 0
	v_cndmask_b32_e32 v7, v1, v6, vcc
	v_cmp_gt_f64_e32 vcc, 0, v[2:3]
	v_mov_b32_e32 v6, v0
	s_nop 0
	v_cndmask_b32_e32 v9, v3, v8, vcc
	v_mov_b32_e32 v8, v2
	v_cmp_ngt_f64_e32 vcc, v[6:7], v[8:9]
	s_and_saveexec_b64 s[0:1], vcc
	s_xor_b64 s[0:1], exec, s[0:1]
	s_cbranch_execz .LBB26_85
; %bb.82:                               ;   in Loop: Header=BB26_78 Depth=1
	v_mov_b64_e32 v[10:11], 0
	v_cmp_neq_f64_e32 vcc, 0, v[2:3]
	s_and_saveexec_b64 s[4:5], vcc
	s_cbranch_execz .LBB26_84
; %bb.83:                               ;   in Loop: Header=BB26_78 Depth=1
	v_div_scale_f64 v[10:11], s[38:39], v[8:9], v[8:9], v[6:7]
	v_rcp_f64_e32 v[12:13], v[10:11]
	v_div_scale_f64 v[14:15], vcc, v[6:7], v[8:9], v[6:7]
	v_fma_f64 v[30:31], -v[10:11], v[12:13], 1.0
	v_fmac_f64_e32 v[12:13], v[12:13], v[30:31]
	v_fma_f64 v[30:31], -v[10:11], v[12:13], 1.0
	v_fmac_f64_e32 v[12:13], v[12:13], v[30:31]
	v_mul_f64 v[30:31], v[14:15], v[12:13]
	v_fma_f64 v[10:11], -v[10:11], v[30:31], v[14:15]
	v_div_fmas_f64 v[10:11], v[10:11], v[12:13], v[30:31]
	v_div_fixup_f64 v[6:7], v[10:11], v[8:9], v[6:7]
	v_fma_f64 v[6:7], v[6:7], v[6:7], 1.0
	v_cmp_gt_f64_e32 vcc, s[18:19], v[6:7]
	s_nop 1
	v_cndmask_b32_e32 v10, 0, v29, vcc
	v_ldexp_f64 v[6:7], v[6:7], v10
	v_rsq_f64_e32 v[10:11], v[6:7]
	s_nop 0
	v_mul_f64 v[12:13], v[6:7], v[10:11]
	v_mul_f64 v[10:11], v[10:11], 0.5
	v_fma_f64 v[14:15], -v[10:11], v[12:13], 0.5
	v_fmac_f64_e32 v[12:13], v[12:13], v[14:15]
	v_fma_f64 v[30:31], -v[12:13], v[12:13], v[6:7]
	v_fmac_f64_e32 v[10:11], v[10:11], v[14:15]
	v_fmac_f64_e32 v[12:13], v[30:31], v[10:11]
	v_fma_f64 v[14:15], -v[12:13], v[12:13], v[6:7]
	v_fmac_f64_e32 v[12:13], v[14:15], v[10:11]
	v_cndmask_b32_e32 v10, 0, v34, vcc
	v_ldexp_f64 v[10:11], v[12:13], v10
	v_cmp_class_f64_e32 vcc, v[6:7], v27
	s_nop 1
	v_cndmask_b32_e32 v7, v11, v7, vcc
	v_cndmask_b32_e32 v6, v10, v6, vcc
	v_mul_f64 v[10:11], v[8:9], v[6:7]
.LBB26_84:                              ;   in Loop: Header=BB26_78 Depth=1
	s_or_b64 exec, exec, s[4:5]
                                        ; implicit-def: $vgpr6_vgpr7
                                        ; implicit-def: $vgpr8_vgpr9
.LBB26_85:                              ;   in Loop: Header=BB26_78 Depth=1
	s_andn2_saveexec_b64 s[0:1], s[0:1]
	s_cbranch_execz .LBB26_87
; %bb.86:                               ;   in Loop: Header=BB26_78 Depth=1
	v_div_scale_f64 v[10:11], s[4:5], v[6:7], v[6:7], v[8:9]
	v_rcp_f64_e32 v[12:13], v[10:11]
	v_div_scale_f64 v[14:15], vcc, v[8:9], v[6:7], v[8:9]
	v_fma_f64 v[30:31], -v[10:11], v[12:13], 1.0
	v_fmac_f64_e32 v[12:13], v[12:13], v[30:31]
	v_fma_f64 v[30:31], -v[10:11], v[12:13], 1.0
	v_fmac_f64_e32 v[12:13], v[12:13], v[30:31]
	v_mul_f64 v[30:31], v[14:15], v[12:13]
	v_fma_f64 v[10:11], -v[10:11], v[30:31], v[14:15]
	v_div_fmas_f64 v[10:11], v[10:11], v[12:13], v[30:31]
	v_div_fixup_f64 v[8:9], v[10:11], v[6:7], v[8:9]
	v_fma_f64 v[8:9], v[8:9], v[8:9], 1.0
	v_cmp_gt_f64_e32 vcc, s[18:19], v[8:9]
	s_nop 1
	v_cndmask_b32_e32 v10, 0, v29, vcc
	v_ldexp_f64 v[8:9], v[8:9], v10
	v_rsq_f64_e32 v[10:11], v[8:9]
	s_nop 0
	v_mul_f64 v[12:13], v[8:9], v[10:11]
	v_mul_f64 v[10:11], v[10:11], 0.5
	v_fma_f64 v[14:15], -v[10:11], v[12:13], 0.5
	v_fmac_f64_e32 v[12:13], v[12:13], v[14:15]
	v_fma_f64 v[30:31], -v[12:13], v[12:13], v[8:9]
	v_fmac_f64_e32 v[10:11], v[10:11], v[14:15]
	v_fmac_f64_e32 v[12:13], v[30:31], v[10:11]
	v_fma_f64 v[14:15], -v[12:13], v[12:13], v[8:9]
	v_fmac_f64_e32 v[12:13], v[14:15], v[10:11]
	v_cndmask_b32_e32 v10, 0, v34, vcc
	v_ldexp_f64 v[10:11], v[12:13], v10
	v_cmp_class_f64_e32 vcc, v[8:9], v27
	s_nop 1
	v_cndmask_b32_e32 v9, v11, v9, vcc
	v_cndmask_b32_e32 v8, v10, v8, vcc
	v_mul_f64 v[10:11], v[6:7], v[8:9]
.LBB26_87:                              ;   in Loop: Header=BB26_78 Depth=1
	s_or_b64 exec, exec, s[0:1]
	v_cmp_ge_f64_e32 vcc, v[22:23], v[10:11]
	s_nop 1
	v_cndmask_b32_e32 v6, v35, v36, vcc
	scratch_load_dwordx4 v[8:11], v6, off
	s_waitcnt vmcnt(0)
	scratch_store_dwordx4 off, v[8:11], off offset:16
	s_and_saveexec_b64 s[0:1], s[2:3]
	s_cbranch_execz .LBB26_89
; %bb.88:                               ;   in Loop: Header=BB26_78 Depth=1
	scratch_load_dwordx4 v[6:9], v6, off
	s_waitcnt vmcnt(0)
	global_store_dwordx4 v[4:5], v[6:9], off
.LBB26_89:                              ;   in Loop: Header=BB26_78 Depth=1
	s_or_b64 exec, exec, s[0:1]
	s_mov_b64 s[4:5], -1
	s_mov_b64 s[38:39], 0
	s_branch .LBB26_80
.LBB26_90:                              ;   in Loop: Header=BB26_78 Depth=1
	v_cmp_neq_f64_e32 vcc, 0, v[0:1]
	v_cmp_neq_f64_e64 s[0:1], 0, v[2:3]
	s_or_b64 s[0:1], vcc, s[0:1]
	s_andn2_b64 s[4:5], s[4:5], exec
	s_and_b64 s[0:1], s[0:1], exec
	s_mov_b64 s[38:39], -1
	s_or_b64 s[4:5], s[4:5], s[0:1]
                                        ; implicit-def: $vgpr38
	s_and_saveexec_b64 s[0:1], s[4:5]
	s_xor_b64 s[40:41], exec, s[0:1]
	s_cbranch_execz .LBB26_112
.LBB26_91:                              ;   in Loop: Header=BB26_78 Depth=1
	v_add_u32_e32 v38, 1, v26
	v_add_u32_e32 v28, v38, v18
	v_cmp_gt_i32_e32 vcc, s33, v28
	s_and_saveexec_b64 s[42:43], vcc
	s_cbranch_execz .LBB26_111
; %bb.92:                               ;   in Loop: Header=BB26_78 Depth=1
	scratch_load_dwordx4 v[0:3], off, off offset:16
	v_cmp_gt_i32_e64 s[4:5], s33, v38
	s_mov_b64 s[44:45], 0
	v_mov_b32_e32 v39, v25
	s_waitcnt vmcnt(0)
	v_mul_f64 v[4:5], v[2:3], v[2:3]
	v_fmac_f64_e32 v[4:5], v[0:1], v[0:1]
	v_div_scale_f64 v[6:7], s[0:1], v[4:5], v[4:5], 1.0
	v_rcp_f64_e32 v[8:9], v[6:7]
	v_div_scale_f64 v[10:11], vcc, 1.0, v[4:5], 1.0
	v_fma_f64 v[12:13], -v[6:7], v[8:9], 1.0
	v_fmac_f64_e32 v[8:9], v[8:9], v[12:13]
	v_fma_f64 v[12:13], -v[6:7], v[8:9], 1.0
	v_fmac_f64_e32 v[8:9], v[8:9], v[12:13]
	v_mul_f64 v[12:13], v[10:11], v[8:9]
	v_fma_f64 v[6:7], -v[6:7], v[12:13], v[10:11]
	v_div_fmas_f64 v[6:7], v[6:7], v[8:9], v[12:13]
	v_div_fixup_f64 v[30:31], v[6:7], v[4:5], 1.0
	s_branch .LBB26_94
.LBB26_93:                              ;   in Loop: Header=BB26_94 Depth=2
	s_or_b64 exec, exec, s[46:47]
	v_add_u32_e32 v28, 64, v28
	v_cmp_le_i32_e32 vcc, s33, v28
	s_or_b64 s[44:45], vcc, s[44:45]
	v_add_u32_e32 v39, s37, v39
	s_andn2_b64 exec, exec, s[44:45]
	s_cbranch_execz .LBB26_111
.LBB26_94:                              ;   Parent Loop BB26_78 Depth=1
                                        ; =>  This Loop Header: Depth=2
                                        ;       Child Loop BB26_103 Depth 3
	s_and_b64 vcc, exec, s[12:13]
	v_add_u32_e32 v10, v28, v37
	s_cbranch_vccz .LBB26_109
; %bb.95:                               ;   in Loop: Header=BB26_94 Depth=2
	v_add_u32_e32 v4, v28, v37
	s_cbranch_execnz .LBB26_97
.LBB26_96:                              ;   in Loop: Header=BB26_94 Depth=2
	v_add_u32_e32 v4, v28, v21
	v_mad_u64_u32 v[4:5], s[0:1], v4, s33, v[26:27]
.LBB26_97:                              ;   in Loop: Header=BB26_94 Depth=2
	v_ashrrev_i32_e32 v5, 31, v4
	v_lshl_add_u64 v[4:5], v[4:5], 4, s[20:21]
	global_load_dwordx4 v[6:9], v[4:5], off
	s_and_b64 vcc, exec, s[12:13]
	s_cbranch_vccz .LBB26_110
; %bb.98:                               ;   in Loop: Header=BB26_94 Depth=2
	s_cbranch_execnz .LBB26_100
.LBB26_99:                              ;   in Loop: Header=BB26_94 Depth=2
	v_add_u32_e32 v4, v28, v21
	v_mad_u64_u32 v[10:11], s[0:1], v4, s33, v[26:27]
.LBB26_100:                             ;   in Loop: Header=BB26_94 Depth=2
	s_waitcnt vmcnt(0)
	v_mul_f64 v[4:5], v[2:3], v[8:9]
	v_fmac_f64_e32 v[4:5], v[6:7], v[0:1]
	v_mul_f64 v[6:7], v[2:3], -v[6:7]
	v_fmac_f64_e32 v[6:7], v[8:9], v[0:1]
	v_ashrrev_i32_e32 v11, 31, v10
	v_mul_f64 v[4:5], v[30:31], v[4:5]
	v_mul_f64 v[6:7], v[30:31], v[6:7]
	v_lshl_add_u64 v[8:9], v[10:11], 4, s[20:21]
	global_store_dwordx4 v[8:9], v[4:7], off
	s_and_saveexec_b64 s[46:47], s[4:5]
	s_cbranch_execz .LBB26_93
; %bb.101:                              ;   in Loop: Header=BB26_94 Depth=2
	s_mov_b32 s49, s48
	v_mov_b32_e32 v40, v39
	v_mov_b32_e32 v41, v24
	;; [unrolled: 1-line block ×3, first 2 shown]
	s_branch .LBB26_103
.LBB26_102:                             ;   in Loop: Header=BB26_103 Depth=3
	s_waitcnt vmcnt(0)
	v_fma_f64 v[12:13], -v[4:5], v[8:9], v[12:13]
	v_fma_f64 v[8:9], -v[6:7], v[8:9], v[14:15]
	v_ashrrev_i32_e32 v33, 31, v32
	s_add_i32 s49, s49, -1
	v_fmac_f64_e32 v[12:13], v[6:7], v[10:11]
	v_fma_f64 v[14:15], -v[4:5], v[10:11], v[8:9]
	v_lshl_add_u64 v[8:9], v[32:33], 4, s[20:21]
	v_add_u32_e32 v42, 1, v42
	v_add_u32_e32 v41, 1, v41
	s_cmp_eq_u32 s49, 0
	v_add_u32_e32 v40, 1, v40
	global_store_dwordx4 v[8:9], v[12:15], off
	s_cbranch_scc1 .LBB26_93
.LBB26_103:                             ;   Parent Loop BB26_78 Depth=1
                                        ;     Parent Loop BB26_94 Depth=2
                                        ; =>    This Inner Loop Header: Depth=3
	v_cndmask_b32_e64 v8, 0, 1, s[12:13]
	v_cmp_ne_u32_e64 s[0:1], 1, v8
	s_andn2_b64 vcc, exec, s[12:13]
	v_add_u32_e32 v33, v42, v21
	v_mov_b32_e32 v8, v41
	s_cbranch_vccnz .LBB26_105
; %bb.104:                              ;   in Loop: Header=BB26_103 Depth=3
	v_mad_u64_u32 v[8:9], s[50:51], v33, s33, v[26:27]
.LBB26_105:                             ;   in Loop: Header=BB26_103 Depth=3
	v_ashrrev_i32_e32 v9, 31, v8
	v_lshl_add_u64 v[8:9], v[8:9], 4, s[20:21]
	global_load_dwordx4 v[8:11], v[8:9], off
	s_and_b64 vcc, exec, s[0:1]
	v_mov_b32_e32 v12, v40
	s_cbranch_vccnz .LBB26_107
; %bb.106:                              ;   in Loop: Header=BB26_103 Depth=3
	v_mad_u64_u32 v[12:13], s[50:51], v33, s33, v[28:29]
.LBB26_107:                             ;   in Loop: Header=BB26_103 Depth=3
	v_ashrrev_i32_e32 v13, 31, v12
	v_lshl_add_u64 v[12:13], v[12:13], 4, s[20:21]
	global_load_dwordx4 v[12:15], v[12:13], off
	s_and_b64 vcc, exec, s[0:1]
	v_mov_b32_e32 v32, v40
	s_cbranch_vccnz .LBB26_102
; %bb.108:                              ;   in Loop: Header=BB26_103 Depth=3
	v_mad_u64_u32 v[32:33], s[0:1], v33, s33, v[28:29]
	s_branch .LBB26_102
.LBB26_109:                             ;   in Loop: Header=BB26_94 Depth=2
                                        ; implicit-def: $vgpr4
	s_branch .LBB26_96
.LBB26_110:                             ;   in Loop: Header=BB26_94 Depth=2
                                        ; implicit-def: $vgpr10
	s_branch .LBB26_99
.LBB26_111:                             ;   in Loop: Header=BB26_78 Depth=1
	s_or_b64 exec, exec, s[42:43]
	s_andn2_b64 s[38:39], s[38:39], exec
.LBB26_112:                             ;   in Loop: Header=BB26_78 Depth=1
	s_or_b64 exec, exec, s[40:41]
	s_andn2_b64 s[0:1], s[24:25], exec
	s_and_b64 s[4:5], s[24:25], exec
	s_or_b64 s[24:25], s[0:1], s[4:5]
	s_and_saveexec_b64 s[0:1], s[38:39]
	s_cbranch_execz .LBB26_77
; %bb.113:                              ;   in Loop: Header=BB26_78 Depth=1
	v_add_u32_e32 v38, 1, v26
	s_or_b64 s[24:25], s[24:25], exec
	s_branch .LBB26_77
.LBB26_114:
	s_or_b64 exec, exec, s[16:17]
	s_andn2_b64 s[0:1], s[6:7], exec
	s_and_b64 s[2:3], s[22:23], exec
	s_or_b64 s[6:7], s[0:1], s[2:3]
.LBB26_115:
	s_or_b64 exec, exec, s[10:11]
	v_add_u32_e32 v14, 1, v20
	v_cmp_lt_i32_e32 vcc, v14, v19
	s_and_saveexec_b64 s[10:11], vcc
	s_cbranch_execz .LBB26_139
; %bb.116:
	v_mul_lo_u32 v15, v20, s33
	v_mul_lo_u32 v0, s33, v15
	s_mul_i32 s23, s33, s33
	v_add_u32_e32 v20, s33, v0
	v_mul_lo_u32 v0, s23, v14
	s_cmp_lg_u32 s36, 0
	v_add3_u32 v21, v0, s33, v18
	v_cndmask_b32_e64 v0, 0, 1, s[8:9]
	v_cmp_gt_i32_e64 s[0:1], s33, v18
	s_cselect_b64 s[12:13], -1, 0
	s_add_i32 s22, s33, 1
	s_add_i32 s24, s33, -1
	s_mov_b64 s[14:15], 0
	v_cmp_ne_u32_e64 s[2:3], 1, v0
	s_branch .LBB26_118
.LBB26_117:                             ;   in Loop: Header=BB26_118 Depth=1
	v_add_u32_e32 v14, 1, v14
	v_cmp_ge_i32_e32 vcc, v14, v19
	s_or_b64 s[14:15], vcc, s[14:15]
	v_add_u32_e32 v21, s23, v21
	s_andn2_b64 exec, exec, s[14:15]
	s_cbranch_execz .LBB26_139
.LBB26_118:                             ; =>This Loop Header: Depth=1
                                        ;     Child Loop BB26_121 Depth 2
                                        ;       Child Loop BB26_124 Depth 3
                                        ;         Child Loop BB26_127 Depth 4
	s_and_b64 vcc, exec, s[2:3]
	s_cbranch_vccnz .LBB26_117
; %bb.119:                              ;   in Loop: Header=BB26_118 Depth=1
	v_mul_lo_u32 v22, v14, s33
	s_mov_b32 s35, 0
	s_mov_b32 s25, s24
	v_mov_b32_e32 v23, v21
	v_mov_b32_e32 v24, v20
	s_branch .LBB26_121
.LBB26_120:                             ;   in Loop: Header=BB26_121 Depth=2
	s_or_b64 exec, exec, s[8:9]
	s_add_i32 s25, s25, -1
	v_add_u32_e32 v24, s22, v24
	v_add_u32_e32 v23, s33, v23
	s_cmp_eq_u32 s36, s33
	s_mov_b32 s35, s36
	s_cbranch_scc1 .LBB26_117
.LBB26_121:                             ;   Parent Loop BB26_118 Depth=1
                                        ; =>  This Loop Header: Depth=2
                                        ;       Child Loop BB26_124 Depth 3
                                        ;         Child Loop BB26_127 Depth 4
	s_add_i32 s36, s35, 1
	s_and_saveexec_b64 s[8:9], s[0:1]
	s_cbranch_execz .LBB26_120
; %bb.122:                              ;   in Loop: Header=BB26_121 Depth=2
	s_cmp_lt_i32 s36, s33
	v_add_u32_e32 v0, s35, v15
	v_mul_lo_u32 v25, v0, s33
	v_add_u32_e32 v0, s35, v22
	s_cselect_b64 s[4:5], -1, 0
	v_mul_lo_u32 v26, v0, s33
	v_cndmask_b32_e64 v0, 0, 1, s[4:5]
	s_mov_b64 s[16:17], 0
	v_cmp_ne_u32_e64 s[4:5], 1, v0
	v_mov_b32_e32 v27, v23
	v_mov_b32_e32 v28, v18
	s_branch .LBB26_124
.LBB26_123:                             ;   in Loop: Header=BB26_124 Depth=3
	v_add_u32_e32 v28, 64, v28
	v_cmp_le_i32_e32 vcc, s33, v28
	s_or_b64 s[16:17], vcc, s[16:17]
	v_add_u32_e32 v27, 64, v27
	s_andn2_b64 exec, exec, s[16:17]
	s_cbranch_execz .LBB26_120
.LBB26_124:                             ;   Parent Loop BB26_118 Depth=1
                                        ;     Parent Loop BB26_121 Depth=2
                                        ; =>    This Loop Header: Depth=3
                                        ;         Child Loop BB26_127 Depth 4
	s_and_b64 vcc, exec, s[4:5]
	s_cbranch_vccnz .LBB26_123
; %bb.125:                              ;   in Loop: Header=BB26_124 Depth=3
	v_add_u32_e32 v0, v28, v22
	v_mul_lo_u32 v29, v0, s33
	v_add_u32_e32 v30, s35, v29
	v_add_u32_e32 v31, v28, v26
	s_mov_b32 s37, 0
	s_mov_b32 s38, s25
	;; [unrolled: 1-line block ×3, first 2 shown]
	s_branch .LBB26_127
.LBB26_126:                             ;   in Loop: Header=BB26_127 Depth=4
	s_waitcnt vmcnt(0)
	v_fma_f64 v[8:9], -v[0:1], v[4:5], v[8:9]
	v_fmac_f64_e32 v[8:9], v[2:3], v[6:7]
	v_fma_f64 v[2:3], -v[2:3], v[4:5], v[10:11]
	v_ashrrev_i32_e32 v13, 31, v12
	s_add_i32 s39, s39, 1
	s_add_i32 s37, s37, s33
	s_add_i32 s38, s38, -1
	v_fma_f64 v[10:11], -v[0:1], v[6:7], v[2:3]
	v_lshl_add_u64 v[0:1], v[12:13], 4, s[20:21]
	s_cmp_eq_u32 s38, 0
	global_store_dwordx4 v[0:1], v[8:11], off
	s_cbranch_scc1 .LBB26_123
.LBB26_127:                             ;   Parent Loop BB26_118 Depth=1
                                        ;     Parent Loop BB26_121 Depth=2
                                        ;       Parent Loop BB26_124 Depth=3
                                        ; =>      This Inner Loop Header: Depth=4
	s_and_b64 vcc, exec, s[12:13]
	s_cbranch_vccz .LBB26_135
; %bb.128:                              ;   in Loop: Header=BB26_127 Depth=4
	v_add_u32_e32 v0, s39, v25
	v_mov_b32_e32 v2, v30
	s_cbranch_execnz .LBB26_130
.LBB26_129:                             ;   in Loop: Header=BB26_127 Depth=4
	v_add_u32_e32 v0, s37, v24
	v_mov_b32_e32 v2, v31
.LBB26_130:                             ;   in Loop: Header=BB26_127 Depth=4
	v_ashrrev_i32_e32 v1, 31, v0
	v_lshl_add_u64 v[8:9], v[0:1], 4, s[20:21]
	v_ashrrev_i32_e32 v3, 31, v2
	v_lshl_add_u64 v[10:11], v[2:3], 4, s[20:21]
	global_load_dwordx4 v[0:3], v[8:9], off
	global_load_dwordx4 v[4:7], v[10:11], off
	s_and_b64 vcc, exec, s[12:13]
	v_add_u32_e32 v12, s39, v29
	s_cbranch_vccz .LBB26_136
; %bb.131:                              ;   in Loop: Header=BB26_127 Depth=4
	v_add_u32_e32 v8, s39, v29
	v_add_u32_e32 v13, s37, v27
	s_cbranch_execnz .LBB26_133
.LBB26_132:                             ;   in Loop: Header=BB26_127 Depth=4
	v_add_u32_e32 v8, s37, v27
.LBB26_133:                             ;   in Loop: Header=BB26_127 Depth=4
	v_ashrrev_i32_e32 v9, 31, v8
	v_lshl_add_u64 v[8:9], v[8:9], 4, s[20:21]
	global_load_dwordx4 v[8:11], v[8:9], off
	s_and_b64 vcc, exec, s[12:13]
	s_cbranch_vccz .LBB26_137
; %bb.134:                              ;   in Loop: Header=BB26_127 Depth=4
	s_cbranch_execnz .LBB26_126
	s_branch .LBB26_138
.LBB26_135:                             ;   in Loop: Header=BB26_127 Depth=4
                                        ; implicit-def: $vgpr0
	v_mov_b32_e32 v2, v30
	s_branch .LBB26_129
.LBB26_136:                             ;   in Loop: Header=BB26_127 Depth=4
                                        ; implicit-def: $vgpr8
	v_add_u32_e32 v13, s37, v27
	s_branch .LBB26_132
.LBB26_137:                             ;   in Loop: Header=BB26_127 Depth=4
                                        ; implicit-def: $vgpr12
.LBB26_138:                             ;   in Loop: Header=BB26_127 Depth=4
	v_mov_b32_e32 v12, v13
	s_branch .LBB26_126
.LBB26_139:
	s_or_b64 exec, exec, s[10:11]
	s_orn2_b64 s[2:3], s[6:7], exec
.LBB26_140:
	s_or_b64 exec, exec, s[30:31]
	v_cmp_eq_u32_e32 vcc, 0, v18
	s_and_b64 exec, exec, vcc
	s_cbranch_execz .LBB26_146
; %bb.141:
	v_lshl_add_u64 v[0:1], v[16:17], 2, s[28:29]
	v_mov_b32_e32 v2, 1
	buffer_wbl2 sc1
	s_waitcnt vmcnt(0)
	global_store_dword v[0:1], v2, off sc1
	s_and_b64 exec, exec, s[2:3]
	s_cbranch_execz .LBB26_146
; %bb.142:
	s_mov_b64 s[0:1], exec
	v_add_u32_e32 v0, s34, v16
	s_brev_b32 s2, -2
.LBB26_143:                             ; =>This Inner Loop Header: Depth=1
	s_ff1_i32_b64 s3, s[0:1]
	v_readlane_b32 s6, v0, s3
	s_lshl_b64 s[4:5], 1, s3
	s_min_i32 s2, s2, s6
	s_andn2_b64 s[0:1], s[0:1], s[4:5]
	s_cmp_lg_u64 s[0:1], 0
	s_cbranch_scc1 .LBB26_143
; %bb.144:
	v_mbcnt_lo_u32_b32 v0, exec_lo, 0
	v_mbcnt_hi_u32_b32 v0, exec_hi, v0
	v_cmp_eq_u32_e32 vcc, 0, v0
	s_and_saveexec_b64 s[0:1], vcc
	s_xor_b64 s[0:1], exec, s[0:1]
	s_cbranch_execz .LBB26_146
; %bb.145:
	v_mov_b32_e32 v0, 0
	v_mov_b32_e32 v1, s2
	global_atomic_smin v0, v1, s[26:27]
.LBB26_146:
	s_endpgm
	.section	.rodata,"a",@progbits
	.p2align	6, 0x0
	.amdhsa_kernel _ZN9rocsparseL15bsrilu0_generalILj128ELj64ELb0E21rocsparse_complex_numIdEEEv20rocsparse_direction_iPKiS5_PT2_S5_iPiS5_S8_21rocsparse_index_base_imNS_24const_host_device_scalarIfEENSA_IdEENSA_IS6_EEb
		.amdhsa_group_segment_fixed_size 0
		.amdhsa_private_segment_fixed_size 48
		.amdhsa_kernarg_size 124
		.amdhsa_user_sgpr_count 2
		.amdhsa_user_sgpr_dispatch_ptr 0
		.amdhsa_user_sgpr_queue_ptr 0
		.amdhsa_user_sgpr_kernarg_segment_ptr 1
		.amdhsa_user_sgpr_dispatch_id 0
		.amdhsa_user_sgpr_kernarg_preload_length 0
		.amdhsa_user_sgpr_kernarg_preload_offset 0
		.amdhsa_user_sgpr_private_segment_size 0
		.amdhsa_uses_dynamic_stack 0
		.amdhsa_enable_private_segment 1
		.amdhsa_system_sgpr_workgroup_id_x 1
		.amdhsa_system_sgpr_workgroup_id_y 0
		.amdhsa_system_sgpr_workgroup_id_z 0
		.amdhsa_system_sgpr_workgroup_info 0
		.amdhsa_system_vgpr_workitem_id 0
		.amdhsa_next_free_vgpr 49
		.amdhsa_next_free_sgpr 68
		.amdhsa_accum_offset 52
		.amdhsa_reserve_vcc 1
		.amdhsa_float_round_mode_32 0
		.amdhsa_float_round_mode_16_64 0
		.amdhsa_float_denorm_mode_32 3
		.amdhsa_float_denorm_mode_16_64 3
		.amdhsa_dx10_clamp 1
		.amdhsa_ieee_mode 1
		.amdhsa_fp16_overflow 0
		.amdhsa_tg_split 0
		.amdhsa_exception_fp_ieee_invalid_op 0
		.amdhsa_exception_fp_denorm_src 0
		.amdhsa_exception_fp_ieee_div_zero 0
		.amdhsa_exception_fp_ieee_overflow 0
		.amdhsa_exception_fp_ieee_underflow 0
		.amdhsa_exception_fp_ieee_inexact 0
		.amdhsa_exception_int_div_zero 0
	.end_amdhsa_kernel
	.section	.text._ZN9rocsparseL15bsrilu0_generalILj128ELj64ELb0E21rocsparse_complex_numIdEEEv20rocsparse_direction_iPKiS5_PT2_S5_iPiS5_S8_21rocsparse_index_base_imNS_24const_host_device_scalarIfEENSA_IdEENSA_IS6_EEb,"axG",@progbits,_ZN9rocsparseL15bsrilu0_generalILj128ELj64ELb0E21rocsparse_complex_numIdEEEv20rocsparse_direction_iPKiS5_PT2_S5_iPiS5_S8_21rocsparse_index_base_imNS_24const_host_device_scalarIfEENSA_IdEENSA_IS6_EEb,comdat
.Lfunc_end26:
	.size	_ZN9rocsparseL15bsrilu0_generalILj128ELj64ELb0E21rocsparse_complex_numIdEEEv20rocsparse_direction_iPKiS5_PT2_S5_iPiS5_S8_21rocsparse_index_base_imNS_24const_host_device_scalarIfEENSA_IdEENSA_IS6_EEb, .Lfunc_end26-_ZN9rocsparseL15bsrilu0_generalILj128ELj64ELb0E21rocsparse_complex_numIdEEEv20rocsparse_direction_iPKiS5_PT2_S5_iPiS5_S8_21rocsparse_index_base_imNS_24const_host_device_scalarIfEENSA_IdEENSA_IS6_EEb
                                        ; -- End function
	.set _ZN9rocsparseL15bsrilu0_generalILj128ELj64ELb0E21rocsparse_complex_numIdEEEv20rocsparse_direction_iPKiS5_PT2_S5_iPiS5_S8_21rocsparse_index_base_imNS_24const_host_device_scalarIfEENSA_IdEENSA_IS6_EEb.num_vgpr, 49
	.set _ZN9rocsparseL15bsrilu0_generalILj128ELj64ELb0E21rocsparse_complex_numIdEEEv20rocsparse_direction_iPKiS5_PT2_S5_iPiS5_S8_21rocsparse_index_base_imNS_24const_host_device_scalarIfEENSA_IdEENSA_IS6_EEb.num_agpr, 0
	.set _ZN9rocsparseL15bsrilu0_generalILj128ELj64ELb0E21rocsparse_complex_numIdEEEv20rocsparse_direction_iPKiS5_PT2_S5_iPiS5_S8_21rocsparse_index_base_imNS_24const_host_device_scalarIfEENSA_IdEENSA_IS6_EEb.numbered_sgpr, 68
	.set _ZN9rocsparseL15bsrilu0_generalILj128ELj64ELb0E21rocsparse_complex_numIdEEEv20rocsparse_direction_iPKiS5_PT2_S5_iPiS5_S8_21rocsparse_index_base_imNS_24const_host_device_scalarIfEENSA_IdEENSA_IS6_EEb.num_named_barrier, 0
	.set _ZN9rocsparseL15bsrilu0_generalILj128ELj64ELb0E21rocsparse_complex_numIdEEEv20rocsparse_direction_iPKiS5_PT2_S5_iPiS5_S8_21rocsparse_index_base_imNS_24const_host_device_scalarIfEENSA_IdEENSA_IS6_EEb.private_seg_size, 48
	.set _ZN9rocsparseL15bsrilu0_generalILj128ELj64ELb0E21rocsparse_complex_numIdEEEv20rocsparse_direction_iPKiS5_PT2_S5_iPiS5_S8_21rocsparse_index_base_imNS_24const_host_device_scalarIfEENSA_IdEENSA_IS6_EEb.uses_vcc, 1
	.set _ZN9rocsparseL15bsrilu0_generalILj128ELj64ELb0E21rocsparse_complex_numIdEEEv20rocsparse_direction_iPKiS5_PT2_S5_iPiS5_S8_21rocsparse_index_base_imNS_24const_host_device_scalarIfEENSA_IdEENSA_IS6_EEb.uses_flat_scratch, 0
	.set _ZN9rocsparseL15bsrilu0_generalILj128ELj64ELb0E21rocsparse_complex_numIdEEEv20rocsparse_direction_iPKiS5_PT2_S5_iPiS5_S8_21rocsparse_index_base_imNS_24const_host_device_scalarIfEENSA_IdEENSA_IS6_EEb.has_dyn_sized_stack, 0
	.set _ZN9rocsparseL15bsrilu0_generalILj128ELj64ELb0E21rocsparse_complex_numIdEEEv20rocsparse_direction_iPKiS5_PT2_S5_iPiS5_S8_21rocsparse_index_base_imNS_24const_host_device_scalarIfEENSA_IdEENSA_IS6_EEb.has_recursion, 0
	.set _ZN9rocsparseL15bsrilu0_generalILj128ELj64ELb0E21rocsparse_complex_numIdEEEv20rocsparse_direction_iPKiS5_PT2_S5_iPiS5_S8_21rocsparse_index_base_imNS_24const_host_device_scalarIfEENSA_IdEENSA_IS6_EEb.has_indirect_call, 0
	.section	.AMDGPU.csdata,"",@progbits
; Kernel info:
; codeLenInByte = 4484
; TotalNumSgprs: 74
; NumVgprs: 49
; NumAgprs: 0
; TotalNumVgprs: 49
; ScratchSize: 48
; MemoryBound: 0
; FloatMode: 240
; IeeeMode: 1
; LDSByteSize: 0 bytes/workgroup (compile time only)
; SGPRBlocks: 9
; VGPRBlocks: 6
; NumSGPRsForWavesPerEU: 74
; NumVGPRsForWavesPerEU: 49
; AccumOffset: 52
; Occupancy: 8
; WaveLimiterHint : 1
; COMPUTE_PGM_RSRC2:SCRATCH_EN: 1
; COMPUTE_PGM_RSRC2:USER_SGPR: 2
; COMPUTE_PGM_RSRC2:TRAP_HANDLER: 0
; COMPUTE_PGM_RSRC2:TGID_X_EN: 1
; COMPUTE_PGM_RSRC2:TGID_Y_EN: 0
; COMPUTE_PGM_RSRC2:TGID_Z_EN: 0
; COMPUTE_PGM_RSRC2:TIDIG_COMP_CNT: 0
; COMPUTE_PGM_RSRC3_GFX90A:ACCUM_OFFSET: 12
; COMPUTE_PGM_RSRC3_GFX90A:TG_SPLIT: 0
	.section	.AMDGPU.gpr_maximums,"",@progbits
	.set amdgpu.max_num_vgpr, 0
	.set amdgpu.max_num_agpr, 0
	.set amdgpu.max_num_sgpr, 0
	.section	.AMDGPU.csdata,"",@progbits
	.type	__hip_cuid_5ebf71be1c260cc4,@object ; @__hip_cuid_5ebf71be1c260cc4
	.section	.bss,"aw",@nobits
	.globl	__hip_cuid_5ebf71be1c260cc4
__hip_cuid_5ebf71be1c260cc4:
	.byte	0                               ; 0x0
	.size	__hip_cuid_5ebf71be1c260cc4, 1

	.ident	"AMD clang version 22.0.0git (https://github.com/RadeonOpenCompute/llvm-project roc-7.2.4 26084 f58b06dce1f9c15707c5f808fd002e18c2accf7e)"
	.section	".note.GNU-stack","",@progbits
	.addrsig
	.addrsig_sym __hip_cuid_5ebf71be1c260cc4
	.amdgpu_metadata
---
amdhsa.kernels:
  - .agpr_count:     0
    .args:
      - .offset:         0
        .size:           4
        .value_kind:     by_value
      - .offset:         4
        .size:           4
        .value_kind:     by_value
      - .address_space:  global
        .offset:         8
        .size:           8
        .value_kind:     global_buffer
      - .address_space:  global
        .offset:         16
        .size:           8
        .value_kind:     global_buffer
      - .address_space:  global
        .offset:         24
        .size:           8
        .value_kind:     global_buffer
      - .address_space:  global
        .offset:         32
        .size:           8
        .value_kind:     global_buffer
      - .offset:         40
        .size:           4
        .value_kind:     by_value
      - .address_space:  global
        .offset:         48
        .size:           8
        .value_kind:     global_buffer
      - .address_space:  global
        .offset:         56
        .size:           8
        .value_kind:     global_buffer
      - .address_space:  global
        .offset:         64
        .size:           8
        .value_kind:     global_buffer
      - .offset:         72
        .size:           4
        .value_kind:     by_value
      - .offset:         76
        .size:           4
        .value_kind:     by_value
      - .offset:         80
        .size:           8
        .value_kind:     by_value
      - .offset:         88
        .size:           8
        .value_kind:     by_value
      - .offset:         96
        .size:           8
        .value_kind:     by_value
      - .offset:         104
        .size:           8
        .value_kind:     by_value
      - .offset:         112
        .size:           1
        .value_kind:     by_value
    .group_segment_fixed_size: 0
    .kernarg_segment_align: 8
    .kernarg_segment_size: 116
    .language:       OpenCL C
    .language_version:
      - 2
      - 0
    .max_flat_workgroup_size: 128
    .name:           _ZN9rocsparseL15bsrilu0_generalILj128ELj64ELb1EfEEv20rocsparse_direction_iPKiS3_PT2_S3_iPiS3_S6_21rocsparse_index_base_imNS_24const_host_device_scalarIfEENS8_IdEENS8_IS4_EEb
    .private_segment_fixed_size: 0
    .sgpr_count:     74
    .sgpr_spill_count: 0
    .symbol:         _ZN9rocsparseL15bsrilu0_generalILj128ELj64ELb1EfEEv20rocsparse_direction_iPKiS3_PT2_S3_iPiS3_S6_21rocsparse_index_base_imNS_24const_host_device_scalarIfEENS8_IdEENS8_IS4_EEb.kd
    .uniform_work_group_size: 1
    .uses_dynamic_stack: false
    .vgpr_count:     37
    .vgpr_spill_count: 0
    .wavefront_size: 64
  - .agpr_count:     0
    .args:
      - .offset:         0
        .size:           4
        .value_kind:     by_value
      - .offset:         4
        .size:           4
        .value_kind:     by_value
      - .address_space:  global
        .offset:         8
        .size:           8
        .value_kind:     global_buffer
      - .address_space:  global
        .offset:         16
        .size:           8
        .value_kind:     global_buffer
      - .address_space:  global
        .offset:         24
        .size:           8
        .value_kind:     global_buffer
      - .address_space:  global
        .offset:         32
        .size:           8
        .value_kind:     global_buffer
      - .offset:         40
        .size:           4
        .value_kind:     by_value
      - .address_space:  global
        .offset:         48
        .size:           8
        .value_kind:     global_buffer
      - .address_space:  global
        .offset:         56
        .size:           8
        .value_kind:     global_buffer
      - .address_space:  global
        .offset:         64
        .size:           8
        .value_kind:     global_buffer
      - .offset:         72
        .size:           4
        .value_kind:     by_value
      - .offset:         76
        .size:           4
        .value_kind:     by_value
      - .offset:         80
        .size:           8
        .value_kind:     by_value
      - .offset:         88
        .size:           8
        .value_kind:     by_value
      - .offset:         96
        .size:           8
        .value_kind:     by_value
      - .offset:         104
        .size:           8
        .value_kind:     by_value
      - .offset:         112
        .size:           1
        .value_kind:     by_value
    .group_segment_fixed_size: 0
    .kernarg_segment_align: 8
    .kernarg_segment_size: 116
    .language:       OpenCL C
    .language_version:
      - 2
      - 0
    .max_flat_workgroup_size: 128
    .name:           _ZN9rocsparseL15bsrilu0_generalILj128ELj32ELb0EfEEv20rocsparse_direction_iPKiS3_PT2_S3_iPiS3_S6_21rocsparse_index_base_imNS_24const_host_device_scalarIfEENS8_IdEENS8_IS4_EEb
    .private_segment_fixed_size: 0
    .sgpr_count:     74
    .sgpr_spill_count: 0
    .symbol:         _ZN9rocsparseL15bsrilu0_generalILj128ELj32ELb0EfEEv20rocsparse_direction_iPKiS3_PT2_S3_iPiS3_S6_21rocsparse_index_base_imNS_24const_host_device_scalarIfEENS8_IdEENS8_IS4_EEb.kd
    .uniform_work_group_size: 1
    .uses_dynamic_stack: false
    .vgpr_count:     37
    .vgpr_spill_count: 0
    .wavefront_size: 64
  - .agpr_count:     0
    .args:
      - .offset:         0
        .size:           4
        .value_kind:     by_value
      - .offset:         4
        .size:           4
        .value_kind:     by_value
      - .address_space:  global
        .offset:         8
        .size:           8
        .value_kind:     global_buffer
      - .address_space:  global
        .offset:         16
        .size:           8
        .value_kind:     global_buffer
      - .address_space:  global
        .offset:         24
        .size:           8
        .value_kind:     global_buffer
      - .address_space:  global
        .offset:         32
        .size:           8
        .value_kind:     global_buffer
      - .offset:         40
        .size:           4
        .value_kind:     by_value
      - .address_space:  global
        .offset:         48
        .size:           8
        .value_kind:     global_buffer
      - .address_space:  global
        .offset:         56
        .size:           8
        .value_kind:     global_buffer
      - .address_space:  global
        .offset:         64
        .size:           8
        .value_kind:     global_buffer
      - .offset:         72
        .size:           4
        .value_kind:     by_value
      - .offset:         76
        .size:           4
        .value_kind:     by_value
      - .offset:         80
        .size:           8
        .value_kind:     by_value
      - .offset:         88
        .size:           8
        .value_kind:     by_value
      - .offset:         96
        .size:           8
        .value_kind:     by_value
      - .offset:         104
        .size:           8
        .value_kind:     by_value
      - .offset:         112
        .size:           1
        .value_kind:     by_value
      - .offset:         120
        .size:           4
        .value_kind:     hidden_block_count_x
      - .offset:         124
        .size:           4
        .value_kind:     hidden_block_count_y
      - .offset:         128
        .size:           4
        .value_kind:     hidden_block_count_z
      - .offset:         132
        .size:           2
        .value_kind:     hidden_group_size_x
      - .offset:         134
        .size:           2
        .value_kind:     hidden_group_size_y
      - .offset:         136
        .size:           2
        .value_kind:     hidden_group_size_z
      - .offset:         138
        .size:           2
        .value_kind:     hidden_remainder_x
      - .offset:         140
        .size:           2
        .value_kind:     hidden_remainder_y
      - .offset:         142
        .size:           2
        .value_kind:     hidden_remainder_z
      - .offset:         160
        .size:           8
        .value_kind:     hidden_global_offset_x
      - .offset:         168
        .size:           8
        .value_kind:     hidden_global_offset_y
      - .offset:         176
        .size:           8
        .value_kind:     hidden_global_offset_z
      - .offset:         184
        .size:           2
        .value_kind:     hidden_grid_dims
    .group_segment_fixed_size: 576
    .kernarg_segment_align: 8
    .kernarg_segment_size: 376
    .language:       OpenCL C
    .language_version:
      - 2
      - 0
    .max_flat_workgroup_size: 64
    .name:           _ZN9rocsparseL11bsrilu0_2_8ILj64ELj64ELj8EfEEv20rocsparse_direction_iPKiS3_PT2_S3_iPiS3_S6_21rocsparse_index_base_imNS_24const_host_device_scalarIfEENS8_IdEENS8_IS4_EEb
    .private_segment_fixed_size: 0
    .sgpr_count:     62
    .sgpr_spill_count: 0
    .symbol:         _ZN9rocsparseL11bsrilu0_2_8ILj64ELj64ELj8EfEEv20rocsparse_direction_iPKiS3_PT2_S3_iPiS3_S6_21rocsparse_index_base_imNS_24const_host_device_scalarIfEENS8_IdEENS8_IS4_EEb.kd
    .uniform_work_group_size: 1
    .uses_dynamic_stack: false
    .vgpr_count:     30
    .vgpr_spill_count: 0
    .wavefront_size: 64
  - .agpr_count:     0
    .args:
      - .offset:         0
        .size:           4
        .value_kind:     by_value
      - .offset:         4
        .size:           4
        .value_kind:     by_value
      - .address_space:  global
        .offset:         8
        .size:           8
        .value_kind:     global_buffer
      - .address_space:  global
        .offset:         16
        .size:           8
        .value_kind:     global_buffer
      - .address_space:  global
        .offset:         24
        .size:           8
        .value_kind:     global_buffer
      - .address_space:  global
        .offset:         32
        .size:           8
        .value_kind:     global_buffer
      - .offset:         40
        .size:           4
        .value_kind:     by_value
      - .address_space:  global
        .offset:         48
        .size:           8
        .value_kind:     global_buffer
      - .address_space:  global
        .offset:         56
        .size:           8
        .value_kind:     global_buffer
      - .address_space:  global
        .offset:         64
        .size:           8
        .value_kind:     global_buffer
      - .offset:         72
        .size:           4
        .value_kind:     by_value
      - .offset:         76
        .size:           4
        .value_kind:     by_value
      - .offset:         80
        .size:           8
        .value_kind:     by_value
      - .offset:         88
        .size:           8
        .value_kind:     by_value
      - .offset:         96
        .size:           8
        .value_kind:     by_value
      - .offset:         104
        .size:           8
        .value_kind:     by_value
      - .offset:         112
        .size:           1
        .value_kind:     by_value
    .group_segment_fixed_size: 2176
    .kernarg_segment_align: 8
    .kernarg_segment_size: 116
    .language:       OpenCL C
    .language_version:
      - 2
      - 0
    .max_flat_workgroup_size: 64
    .name:           _ZN9rocsparseL12bsrilu0_9_32ILj64ELj64ELj16EfEEv20rocsparse_direction_iPKiS3_PT2_S3_iPiS3_S6_21rocsparse_index_base_imNS_24const_host_device_scalarIfEENS8_IdEENS8_IS4_EEb
    .private_segment_fixed_size: 0
    .sgpr_count:     88
    .sgpr_spill_count: 0
    .symbol:         _ZN9rocsparseL12bsrilu0_9_32ILj64ELj64ELj16EfEEv20rocsparse_direction_iPKiS3_PT2_S3_iPiS3_S6_21rocsparse_index_base_imNS_24const_host_device_scalarIfEENS8_IdEENS8_IS4_EEb.kd
    .uniform_work_group_size: 1
    .uses_dynamic_stack: false
    .vgpr_count:     56
    .vgpr_spill_count: 0
    .wavefront_size: 64
  - .agpr_count:     0
    .args:
      - .offset:         0
        .size:           4
        .value_kind:     by_value
      - .offset:         4
        .size:           4
        .value_kind:     by_value
      - .address_space:  global
        .offset:         8
        .size:           8
        .value_kind:     global_buffer
      - .address_space:  global
        .offset:         16
        .size:           8
        .value_kind:     global_buffer
      - .address_space:  global
        .offset:         24
        .size:           8
        .value_kind:     global_buffer
      - .address_space:  global
        .offset:         32
        .size:           8
        .value_kind:     global_buffer
      - .offset:         40
        .size:           4
        .value_kind:     by_value
      - .address_space:  global
        .offset:         48
        .size:           8
        .value_kind:     global_buffer
      - .address_space:  global
        .offset:         56
        .size:           8
        .value_kind:     global_buffer
      - .address_space:  global
        .offset:         64
        .size:           8
        .value_kind:     global_buffer
      - .offset:         72
        .size:           4
        .value_kind:     by_value
      - .offset:         76
        .size:           4
        .value_kind:     by_value
      - .offset:         80
        .size:           8
        .value_kind:     by_value
      - .offset:         88
        .size:           8
        .value_kind:     by_value
      - .offset:         96
        .size:           8
        .value_kind:     by_value
      - .offset:         104
        .size:           8
        .value_kind:     by_value
      - .offset:         112
        .size:           1
        .value_kind:     by_value
    .group_segment_fixed_size: 8448
    .kernarg_segment_align: 8
    .kernarg_segment_size: 116
    .language:       OpenCL C
    .language_version:
      - 2
      - 0
    .max_flat_workgroup_size: 64
    .name:           _ZN9rocsparseL12bsrilu0_9_32ILj64ELj64ELj32EfEEv20rocsparse_direction_iPKiS3_PT2_S3_iPiS3_S6_21rocsparse_index_base_imNS_24const_host_device_scalarIfEENS8_IdEENS8_IS4_EEb
    .private_segment_fixed_size: 0
    .sgpr_count:     88
    .sgpr_spill_count: 0
    .symbol:         _ZN9rocsparseL12bsrilu0_9_32ILj64ELj64ELj32EfEEv20rocsparse_direction_iPKiS3_PT2_S3_iPiS3_S6_21rocsparse_index_base_imNS_24const_host_device_scalarIfEENS8_IdEENS8_IS4_EEb.kd
    .uniform_work_group_size: 1
    .uses_dynamic_stack: false
    .vgpr_count:     56
    .vgpr_spill_count: 0
    .wavefront_size: 64
  - .agpr_count:     0
    .args:
      - .offset:         0
        .size:           4
        .value_kind:     by_value
      - .offset:         4
        .size:           4
        .value_kind:     by_value
      - .address_space:  global
        .offset:         8
        .size:           8
        .value_kind:     global_buffer
      - .address_space:  global
        .offset:         16
        .size:           8
        .value_kind:     global_buffer
      - .address_space:  global
        .offset:         24
        .size:           8
        .value_kind:     global_buffer
      - .address_space:  global
        .offset:         32
        .size:           8
        .value_kind:     global_buffer
      - .offset:         40
        .size:           4
        .value_kind:     by_value
      - .address_space:  global
        .offset:         48
        .size:           8
        .value_kind:     global_buffer
      - .address_space:  global
        .offset:         56
        .size:           8
        .value_kind:     global_buffer
      - .address_space:  global
        .offset:         64
        .size:           8
        .value_kind:     global_buffer
      - .offset:         72
        .size:           4
        .value_kind:     by_value
      - .offset:         76
        .size:           4
        .value_kind:     by_value
      - .offset:         80
        .size:           8
        .value_kind:     by_value
      - .offset:         88
        .size:           8
        .value_kind:     by_value
      - .offset:         96
        .size:           8
        .value_kind:     by_value
      - .offset:         104
        .size:           8
        .value_kind:     by_value
      - .offset:         112
        .size:           1
        .value_kind:     by_value
    .group_segment_fixed_size: 16640
    .kernarg_segment_align: 8
    .kernarg_segment_size: 116
    .language:       OpenCL C
    .language_version:
      - 2
      - 0
    .max_flat_workgroup_size: 64
    .name:           _ZN9rocsparseL13bsrilu0_33_64ILj64ELj64ELj64EfEEv20rocsparse_direction_iPKiS3_PT2_S3_iPiS3_S6_21rocsparse_index_base_imNS_24const_host_device_scalarIfEENS8_IdEENS8_IS4_EEb
    .private_segment_fixed_size: 0
    .sgpr_count:     80
    .sgpr_spill_count: 0
    .symbol:         _ZN9rocsparseL13bsrilu0_33_64ILj64ELj64ELj64EfEEv20rocsparse_direction_iPKiS3_PT2_S3_iPiS3_S6_21rocsparse_index_base_imNS_24const_host_device_scalarIfEENS8_IdEENS8_IS4_EEb.kd
    .uniform_work_group_size: 1
    .uses_dynamic_stack: false
    .vgpr_count:     42
    .vgpr_spill_count: 0
    .wavefront_size: 64
  - .agpr_count:     0
    .args:
      - .offset:         0
        .size:           4
        .value_kind:     by_value
      - .offset:         4
        .size:           4
        .value_kind:     by_value
      - .address_space:  global
        .offset:         8
        .size:           8
        .value_kind:     global_buffer
      - .address_space:  global
        .offset:         16
        .size:           8
        .value_kind:     global_buffer
      - .address_space:  global
        .offset:         24
        .size:           8
        .value_kind:     global_buffer
      - .address_space:  global
        .offset:         32
        .size:           8
        .value_kind:     global_buffer
      - .offset:         40
        .size:           4
        .value_kind:     by_value
      - .address_space:  global
        .offset:         48
        .size:           8
        .value_kind:     global_buffer
      - .address_space:  global
        .offset:         56
        .size:           8
        .value_kind:     global_buffer
      - .address_space:  global
        .offset:         64
        .size:           8
        .value_kind:     global_buffer
      - .offset:         72
        .size:           4
        .value_kind:     by_value
      - .offset:         76
        .size:           4
        .value_kind:     by_value
      - .offset:         80
        .size:           8
        .value_kind:     by_value
      - .offset:         88
        .size:           8
        .value_kind:     by_value
      - .offset:         96
        .size:           8
        .value_kind:     by_value
      - .offset:         104
        .size:           8
        .value_kind:     by_value
      - .offset:         112
        .size:           1
        .value_kind:     by_value
    .group_segment_fixed_size: 0
    .kernarg_segment_align: 8
    .kernarg_segment_size: 116
    .language:       OpenCL C
    .language_version:
      - 2
      - 0
    .max_flat_workgroup_size: 128
    .name:           _ZN9rocsparseL15bsrilu0_generalILj128ELj64ELb0EfEEv20rocsparse_direction_iPKiS3_PT2_S3_iPiS3_S6_21rocsparse_index_base_imNS_24const_host_device_scalarIfEENS8_IdEENS8_IS4_EEb
    .private_segment_fixed_size: 0
    .sgpr_count:     74
    .sgpr_spill_count: 0
    .symbol:         _ZN9rocsparseL15bsrilu0_generalILj128ELj64ELb0EfEEv20rocsparse_direction_iPKiS3_PT2_S3_iPiS3_S6_21rocsparse_index_base_imNS_24const_host_device_scalarIfEENS8_IdEENS8_IS4_EEb.kd
    .uniform_work_group_size: 1
    .uses_dynamic_stack: false
    .vgpr_count:     37
    .vgpr_spill_count: 0
    .wavefront_size: 64
  - .agpr_count:     0
    .args:
      - .offset:         0
        .size:           4
        .value_kind:     by_value
      - .offset:         4
        .size:           4
        .value_kind:     by_value
      - .address_space:  global
        .offset:         8
        .size:           8
        .value_kind:     global_buffer
      - .address_space:  global
        .offset:         16
        .size:           8
        .value_kind:     global_buffer
      - .address_space:  global
        .offset:         24
        .size:           8
        .value_kind:     global_buffer
      - .address_space:  global
        .offset:         32
        .size:           8
        .value_kind:     global_buffer
      - .offset:         40
        .size:           4
        .value_kind:     by_value
      - .address_space:  global
        .offset:         48
        .size:           8
        .value_kind:     global_buffer
      - .address_space:  global
        .offset:         56
        .size:           8
        .value_kind:     global_buffer
      - .address_space:  global
        .offset:         64
        .size:           8
        .value_kind:     global_buffer
      - .offset:         72
        .size:           4
        .value_kind:     by_value
      - .offset:         76
        .size:           4
        .value_kind:     by_value
      - .offset:         80
        .size:           8
        .value_kind:     by_value
      - .offset:         88
        .size:           8
        .value_kind:     by_value
      - .offset:         96
        .size:           8
        .value_kind:     by_value
      - .offset:         104
        .size:           8
        .value_kind:     by_value
      - .offset:         112
        .size:           1
        .value_kind:     by_value
    .group_segment_fixed_size: 0
    .kernarg_segment_align: 8
    .kernarg_segment_size: 116
    .language:       OpenCL C
    .language_version:
      - 2
      - 0
    .max_flat_workgroup_size: 128
    .name:           _ZN9rocsparseL15bsrilu0_generalILj128ELj64ELb1EdEEv20rocsparse_direction_iPKiS3_PT2_S3_iPiS3_S6_21rocsparse_index_base_imNS_24const_host_device_scalarIfEENS8_IdEENS8_IS4_EEb
    .private_segment_fixed_size: 0
    .sgpr_count:     74
    .sgpr_spill_count: 0
    .symbol:         _ZN9rocsparseL15bsrilu0_generalILj128ELj64ELb1EdEEv20rocsparse_direction_iPKiS3_PT2_S3_iPiS3_S6_21rocsparse_index_base_imNS_24const_host_device_scalarIfEENS8_IdEENS8_IS4_EEb.kd
    .uniform_work_group_size: 1
    .uses_dynamic_stack: false
    .vgpr_count:     42
    .vgpr_spill_count: 0
    .wavefront_size: 64
  - .agpr_count:     0
    .args:
      - .offset:         0
        .size:           4
        .value_kind:     by_value
      - .offset:         4
        .size:           4
        .value_kind:     by_value
      - .address_space:  global
        .offset:         8
        .size:           8
        .value_kind:     global_buffer
      - .address_space:  global
        .offset:         16
        .size:           8
        .value_kind:     global_buffer
      - .address_space:  global
        .offset:         24
        .size:           8
        .value_kind:     global_buffer
      - .address_space:  global
        .offset:         32
        .size:           8
        .value_kind:     global_buffer
      - .offset:         40
        .size:           4
        .value_kind:     by_value
      - .address_space:  global
        .offset:         48
        .size:           8
        .value_kind:     global_buffer
      - .address_space:  global
        .offset:         56
        .size:           8
        .value_kind:     global_buffer
      - .address_space:  global
        .offset:         64
        .size:           8
        .value_kind:     global_buffer
      - .offset:         72
        .size:           4
        .value_kind:     by_value
      - .offset:         76
        .size:           4
        .value_kind:     by_value
      - .offset:         80
        .size:           8
        .value_kind:     by_value
      - .offset:         88
        .size:           8
        .value_kind:     by_value
      - .offset:         96
        .size:           8
        .value_kind:     by_value
      - .offset:         104
        .size:           8
        .value_kind:     by_value
      - .offset:         112
        .size:           1
        .value_kind:     by_value
    .group_segment_fixed_size: 0
    .kernarg_segment_align: 8
    .kernarg_segment_size: 116
    .language:       OpenCL C
    .language_version:
      - 2
      - 0
    .max_flat_workgroup_size: 128
    .name:           _ZN9rocsparseL15bsrilu0_generalILj128ELj32ELb0EdEEv20rocsparse_direction_iPKiS3_PT2_S3_iPiS3_S6_21rocsparse_index_base_imNS_24const_host_device_scalarIfEENS8_IdEENS8_IS4_EEb
    .private_segment_fixed_size: 0
    .sgpr_count:     74
    .sgpr_spill_count: 0
    .symbol:         _ZN9rocsparseL15bsrilu0_generalILj128ELj32ELb0EdEEv20rocsparse_direction_iPKiS3_PT2_S3_iPiS3_S6_21rocsparse_index_base_imNS_24const_host_device_scalarIfEENS8_IdEENS8_IS4_EEb.kd
    .uniform_work_group_size: 1
    .uses_dynamic_stack: false
    .vgpr_count:     42
    .vgpr_spill_count: 0
    .wavefront_size: 64
  - .agpr_count:     0
    .args:
      - .offset:         0
        .size:           4
        .value_kind:     by_value
      - .offset:         4
        .size:           4
        .value_kind:     by_value
      - .address_space:  global
        .offset:         8
        .size:           8
        .value_kind:     global_buffer
      - .address_space:  global
        .offset:         16
        .size:           8
        .value_kind:     global_buffer
      - .address_space:  global
        .offset:         24
        .size:           8
        .value_kind:     global_buffer
      - .address_space:  global
        .offset:         32
        .size:           8
        .value_kind:     global_buffer
      - .offset:         40
        .size:           4
        .value_kind:     by_value
      - .address_space:  global
        .offset:         48
        .size:           8
        .value_kind:     global_buffer
      - .address_space:  global
        .offset:         56
        .size:           8
        .value_kind:     global_buffer
      - .address_space:  global
        .offset:         64
        .size:           8
        .value_kind:     global_buffer
      - .offset:         72
        .size:           4
        .value_kind:     by_value
      - .offset:         76
        .size:           4
        .value_kind:     by_value
      - .offset:         80
        .size:           8
        .value_kind:     by_value
      - .offset:         88
        .size:           8
        .value_kind:     by_value
      - .offset:         96
        .size:           8
        .value_kind:     by_value
      - .offset:         104
        .size:           8
        .value_kind:     by_value
      - .offset:         112
        .size:           1
        .value_kind:     by_value
      - .offset:         120
        .size:           4
        .value_kind:     hidden_block_count_x
      - .offset:         124
        .size:           4
        .value_kind:     hidden_block_count_y
      - .offset:         128
        .size:           4
        .value_kind:     hidden_block_count_z
      - .offset:         132
        .size:           2
        .value_kind:     hidden_group_size_x
      - .offset:         134
        .size:           2
        .value_kind:     hidden_group_size_y
      - .offset:         136
        .size:           2
        .value_kind:     hidden_group_size_z
      - .offset:         138
        .size:           2
        .value_kind:     hidden_remainder_x
      - .offset:         140
        .size:           2
        .value_kind:     hidden_remainder_y
      - .offset:         142
        .size:           2
        .value_kind:     hidden_remainder_z
      - .offset:         160
        .size:           8
        .value_kind:     hidden_global_offset_x
      - .offset:         168
        .size:           8
        .value_kind:     hidden_global_offset_y
      - .offset:         176
        .size:           8
        .value_kind:     hidden_global_offset_z
      - .offset:         184
        .size:           2
        .value_kind:     hidden_grid_dims
    .group_segment_fixed_size: 1152
    .kernarg_segment_align: 8
    .kernarg_segment_size: 376
    .language:       OpenCL C
    .language_version:
      - 2
      - 0
    .max_flat_workgroup_size: 64
    .name:           _ZN9rocsparseL11bsrilu0_2_8ILj64ELj64ELj8EdEEv20rocsparse_direction_iPKiS3_PT2_S3_iPiS3_S6_21rocsparse_index_base_imNS_24const_host_device_scalarIfEENS8_IdEENS8_IS4_EEb
    .private_segment_fixed_size: 0
    .sgpr_count:     63
    .sgpr_spill_count: 0
    .symbol:         _ZN9rocsparseL11bsrilu0_2_8ILj64ELj64ELj8EdEEv20rocsparse_direction_iPKiS3_PT2_S3_iPiS3_S6_21rocsparse_index_base_imNS_24const_host_device_scalarIfEENS8_IdEENS8_IS4_EEb.kd
    .uniform_work_group_size: 1
    .uses_dynamic_stack: false
    .vgpr_count:     36
    .vgpr_spill_count: 0
    .wavefront_size: 64
  - .agpr_count:     0
    .args:
      - .offset:         0
        .size:           4
        .value_kind:     by_value
      - .offset:         4
        .size:           4
        .value_kind:     by_value
      - .address_space:  global
        .offset:         8
        .size:           8
        .value_kind:     global_buffer
      - .address_space:  global
        .offset:         16
        .size:           8
        .value_kind:     global_buffer
      - .address_space:  global
        .offset:         24
        .size:           8
        .value_kind:     global_buffer
      - .address_space:  global
        .offset:         32
        .size:           8
        .value_kind:     global_buffer
      - .offset:         40
        .size:           4
        .value_kind:     by_value
      - .address_space:  global
        .offset:         48
        .size:           8
        .value_kind:     global_buffer
      - .address_space:  global
        .offset:         56
        .size:           8
        .value_kind:     global_buffer
      - .address_space:  global
        .offset:         64
        .size:           8
        .value_kind:     global_buffer
      - .offset:         72
        .size:           4
        .value_kind:     by_value
      - .offset:         76
        .size:           4
        .value_kind:     by_value
      - .offset:         80
        .size:           8
        .value_kind:     by_value
      - .offset:         88
        .size:           8
        .value_kind:     by_value
      - .offset:         96
        .size:           8
        .value_kind:     by_value
      - .offset:         104
        .size:           8
        .value_kind:     by_value
      - .offset:         112
        .size:           1
        .value_kind:     by_value
    .group_segment_fixed_size: 4352
    .kernarg_segment_align: 8
    .kernarg_segment_size: 116
    .language:       OpenCL C
    .language_version:
      - 2
      - 0
    .max_flat_workgroup_size: 64
    .name:           _ZN9rocsparseL12bsrilu0_9_32ILj64ELj64ELj16EdEEv20rocsparse_direction_iPKiS3_PT2_S3_iPiS3_S6_21rocsparse_index_base_imNS_24const_host_device_scalarIfEENS8_IdEENS8_IS4_EEb
    .private_segment_fixed_size: 0
    .sgpr_count:     74
    .sgpr_spill_count: 0
    .symbol:         _ZN9rocsparseL12bsrilu0_9_32ILj64ELj64ELj16EdEEv20rocsparse_direction_iPKiS3_PT2_S3_iPiS3_S6_21rocsparse_index_base_imNS_24const_host_device_scalarIfEENS8_IdEENS8_IS4_EEb.kd
    .uniform_work_group_size: 1
    .uses_dynamic_stack: false
    .vgpr_count:     44
    .vgpr_spill_count: 0
    .wavefront_size: 64
  - .agpr_count:     0
    .args:
      - .offset:         0
        .size:           4
        .value_kind:     by_value
      - .offset:         4
        .size:           4
        .value_kind:     by_value
      - .address_space:  global
        .offset:         8
        .size:           8
        .value_kind:     global_buffer
      - .address_space:  global
        .offset:         16
        .size:           8
        .value_kind:     global_buffer
      - .address_space:  global
        .offset:         24
        .size:           8
        .value_kind:     global_buffer
      - .address_space:  global
        .offset:         32
        .size:           8
        .value_kind:     global_buffer
      - .offset:         40
        .size:           4
        .value_kind:     by_value
      - .address_space:  global
        .offset:         48
        .size:           8
        .value_kind:     global_buffer
      - .address_space:  global
        .offset:         56
        .size:           8
        .value_kind:     global_buffer
      - .address_space:  global
        .offset:         64
        .size:           8
        .value_kind:     global_buffer
      - .offset:         72
        .size:           4
        .value_kind:     by_value
      - .offset:         76
        .size:           4
        .value_kind:     by_value
      - .offset:         80
        .size:           8
        .value_kind:     by_value
      - .offset:         88
        .size:           8
        .value_kind:     by_value
      - .offset:         96
        .size:           8
        .value_kind:     by_value
      - .offset:         104
        .size:           8
        .value_kind:     by_value
      - .offset:         112
        .size:           1
        .value_kind:     by_value
    .group_segment_fixed_size: 16896
    .kernarg_segment_align: 8
    .kernarg_segment_size: 116
    .language:       OpenCL C
    .language_version:
      - 2
      - 0
    .max_flat_workgroup_size: 64
    .name:           _ZN9rocsparseL12bsrilu0_9_32ILj64ELj64ELj32EdEEv20rocsparse_direction_iPKiS3_PT2_S3_iPiS3_S6_21rocsparse_index_base_imNS_24const_host_device_scalarIfEENS8_IdEENS8_IS4_EEb
    .private_segment_fixed_size: 0
    .sgpr_count:     74
    .sgpr_spill_count: 0
    .symbol:         _ZN9rocsparseL12bsrilu0_9_32ILj64ELj64ELj32EdEEv20rocsparse_direction_iPKiS3_PT2_S3_iPiS3_S6_21rocsparse_index_base_imNS_24const_host_device_scalarIfEENS8_IdEENS8_IS4_EEb.kd
    .uniform_work_group_size: 1
    .uses_dynamic_stack: false
    .vgpr_count:     44
    .vgpr_spill_count: 0
    .wavefront_size: 64
  - .agpr_count:     0
    .args:
      - .offset:         0
        .size:           4
        .value_kind:     by_value
      - .offset:         4
        .size:           4
        .value_kind:     by_value
      - .address_space:  global
        .offset:         8
        .size:           8
        .value_kind:     global_buffer
      - .address_space:  global
        .offset:         16
        .size:           8
        .value_kind:     global_buffer
      - .address_space:  global
        .offset:         24
        .size:           8
        .value_kind:     global_buffer
      - .address_space:  global
        .offset:         32
        .size:           8
        .value_kind:     global_buffer
      - .offset:         40
        .size:           4
        .value_kind:     by_value
      - .address_space:  global
        .offset:         48
        .size:           8
        .value_kind:     global_buffer
      - .address_space:  global
        .offset:         56
        .size:           8
        .value_kind:     global_buffer
      - .address_space:  global
        .offset:         64
        .size:           8
        .value_kind:     global_buffer
      - .offset:         72
        .size:           4
        .value_kind:     by_value
      - .offset:         76
        .size:           4
        .value_kind:     by_value
      - .offset:         80
        .size:           8
        .value_kind:     by_value
      - .offset:         88
        .size:           8
        .value_kind:     by_value
      - .offset:         96
        .size:           8
        .value_kind:     by_value
      - .offset:         104
        .size:           8
        .value_kind:     by_value
      - .offset:         112
        .size:           1
        .value_kind:     by_value
    .group_segment_fixed_size: 33280
    .kernarg_segment_align: 8
    .kernarg_segment_size: 116
    .language:       OpenCL C
    .language_version:
      - 2
      - 0
    .max_flat_workgroup_size: 64
    .name:           _ZN9rocsparseL13bsrilu0_33_64ILj64ELj64ELj64EdEEv20rocsparse_direction_iPKiS3_PT2_S3_iPiS3_S6_21rocsparse_index_base_imNS_24const_host_device_scalarIfEENS8_IdEENS8_IS4_EEb
    .private_segment_fixed_size: 0
    .sgpr_count:     72
    .sgpr_spill_count: 0
    .symbol:         _ZN9rocsparseL13bsrilu0_33_64ILj64ELj64ELj64EdEEv20rocsparse_direction_iPKiS3_PT2_S3_iPiS3_S6_21rocsparse_index_base_imNS_24const_host_device_scalarIfEENS8_IdEENS8_IS4_EEb.kd
    .uniform_work_group_size: 1
    .uses_dynamic_stack: false
    .vgpr_count:     39
    .vgpr_spill_count: 0
    .wavefront_size: 64
  - .agpr_count:     0
    .args:
      - .offset:         0
        .size:           4
        .value_kind:     by_value
      - .offset:         4
        .size:           4
        .value_kind:     by_value
      - .address_space:  global
        .offset:         8
        .size:           8
        .value_kind:     global_buffer
      - .address_space:  global
        .offset:         16
        .size:           8
        .value_kind:     global_buffer
      - .address_space:  global
        .offset:         24
        .size:           8
        .value_kind:     global_buffer
      - .address_space:  global
        .offset:         32
        .size:           8
        .value_kind:     global_buffer
      - .offset:         40
        .size:           4
        .value_kind:     by_value
      - .address_space:  global
        .offset:         48
        .size:           8
        .value_kind:     global_buffer
      - .address_space:  global
        .offset:         56
        .size:           8
        .value_kind:     global_buffer
      - .address_space:  global
        .offset:         64
        .size:           8
        .value_kind:     global_buffer
      - .offset:         72
        .size:           4
        .value_kind:     by_value
      - .offset:         76
        .size:           4
        .value_kind:     by_value
      - .offset:         80
        .size:           8
        .value_kind:     by_value
      - .offset:         88
        .size:           8
        .value_kind:     by_value
      - .offset:         96
        .size:           8
        .value_kind:     by_value
      - .offset:         104
        .size:           8
        .value_kind:     by_value
      - .offset:         112
        .size:           1
        .value_kind:     by_value
    .group_segment_fixed_size: 0
    .kernarg_segment_align: 8
    .kernarg_segment_size: 116
    .language:       OpenCL C
    .language_version:
      - 2
      - 0
    .max_flat_workgroup_size: 128
    .name:           _ZN9rocsparseL15bsrilu0_generalILj128ELj64ELb0EdEEv20rocsparse_direction_iPKiS3_PT2_S3_iPiS3_S6_21rocsparse_index_base_imNS_24const_host_device_scalarIfEENS8_IdEENS8_IS4_EEb
    .private_segment_fixed_size: 0
    .sgpr_count:     74
    .sgpr_spill_count: 0
    .symbol:         _ZN9rocsparseL15bsrilu0_generalILj128ELj64ELb0EdEEv20rocsparse_direction_iPKiS3_PT2_S3_iPiS3_S6_21rocsparse_index_base_imNS_24const_host_device_scalarIfEENS8_IdEENS8_IS4_EEb.kd
    .uniform_work_group_size: 1
    .uses_dynamic_stack: false
    .vgpr_count:     42
    .vgpr_spill_count: 0
    .wavefront_size: 64
  - .agpr_count:     0
    .args:
      - .offset:         0
        .size:           4
        .value_kind:     by_value
      - .offset:         4
        .size:           4
        .value_kind:     by_value
      - .address_space:  global
        .offset:         8
        .size:           8
        .value_kind:     global_buffer
      - .address_space:  global
        .offset:         16
        .size:           8
        .value_kind:     global_buffer
      - .address_space:  global
        .offset:         24
        .size:           8
        .value_kind:     global_buffer
      - .address_space:  global
        .offset:         32
        .size:           8
        .value_kind:     global_buffer
      - .offset:         40
        .size:           4
        .value_kind:     by_value
      - .address_space:  global
        .offset:         48
        .size:           8
        .value_kind:     global_buffer
      - .address_space:  global
        .offset:         56
        .size:           8
        .value_kind:     global_buffer
      - .address_space:  global
        .offset:         64
        .size:           8
        .value_kind:     global_buffer
      - .offset:         72
        .size:           4
        .value_kind:     by_value
      - .offset:         76
        .size:           4
        .value_kind:     by_value
      - .offset:         80
        .size:           8
        .value_kind:     by_value
      - .offset:         88
        .size:           8
        .value_kind:     by_value
      - .offset:         96
        .size:           8
        .value_kind:     by_value
      - .offset:         104
        .size:           8
        .value_kind:     by_value
      - .offset:         112
        .size:           1
        .value_kind:     by_value
    .group_segment_fixed_size: 0
    .kernarg_segment_align: 8
    .kernarg_segment_size: 116
    .language:       OpenCL C
    .language_version:
      - 2
      - 0
    .max_flat_workgroup_size: 128
    .name:           _ZN9rocsparseL15bsrilu0_generalILj128ELj64ELb1E21rocsparse_complex_numIfEEEv20rocsparse_direction_iPKiS5_PT2_S5_iPiS5_S8_21rocsparse_index_base_imNS_24const_host_device_scalarIfEENSA_IdEENSA_IS6_EEb
    .private_segment_fixed_size: 0
    .sgpr_count:     76
    .sgpr_spill_count: 0
    .symbol:         _ZN9rocsparseL15bsrilu0_generalILj128ELj64ELb1E21rocsparse_complex_numIfEEEv20rocsparse_direction_iPKiS5_PT2_S5_iPiS5_S8_21rocsparse_index_base_imNS_24const_host_device_scalarIfEENSA_IdEENSA_IS6_EEb.kd
    .uniform_work_group_size: 1
    .uses_dynamic_stack: false
    .vgpr_count:     46
    .vgpr_spill_count: 0
    .wavefront_size: 64
  - .agpr_count:     0
    .args:
      - .offset:         0
        .size:           4
        .value_kind:     by_value
      - .offset:         4
        .size:           4
        .value_kind:     by_value
      - .address_space:  global
        .offset:         8
        .size:           8
        .value_kind:     global_buffer
      - .address_space:  global
        .offset:         16
        .size:           8
        .value_kind:     global_buffer
      - .address_space:  global
        .offset:         24
        .size:           8
        .value_kind:     global_buffer
      - .address_space:  global
        .offset:         32
        .size:           8
        .value_kind:     global_buffer
      - .offset:         40
        .size:           4
        .value_kind:     by_value
      - .address_space:  global
        .offset:         48
        .size:           8
        .value_kind:     global_buffer
      - .address_space:  global
        .offset:         56
        .size:           8
        .value_kind:     global_buffer
      - .address_space:  global
        .offset:         64
        .size:           8
        .value_kind:     global_buffer
      - .offset:         72
        .size:           4
        .value_kind:     by_value
      - .offset:         76
        .size:           4
        .value_kind:     by_value
      - .offset:         80
        .size:           8
        .value_kind:     by_value
      - .offset:         88
        .size:           8
        .value_kind:     by_value
      - .offset:         96
        .size:           8
        .value_kind:     by_value
      - .offset:         104
        .size:           8
        .value_kind:     by_value
      - .offset:         112
        .size:           1
        .value_kind:     by_value
    .group_segment_fixed_size: 0
    .kernarg_segment_align: 8
    .kernarg_segment_size: 116
    .language:       OpenCL C
    .language_version:
      - 2
      - 0
    .max_flat_workgroup_size: 128
    .name:           _ZN9rocsparseL15bsrilu0_generalILj128ELj32ELb0E21rocsparse_complex_numIfEEEv20rocsparse_direction_iPKiS5_PT2_S5_iPiS5_S8_21rocsparse_index_base_imNS_24const_host_device_scalarIfEENSA_IdEENSA_IS6_EEb
    .private_segment_fixed_size: 0
    .sgpr_count:     76
    .sgpr_spill_count: 0
    .symbol:         _ZN9rocsparseL15bsrilu0_generalILj128ELj32ELb0E21rocsparse_complex_numIfEEEv20rocsparse_direction_iPKiS5_PT2_S5_iPiS5_S8_21rocsparse_index_base_imNS_24const_host_device_scalarIfEENSA_IdEENSA_IS6_EEb.kd
    .uniform_work_group_size: 1
    .uses_dynamic_stack: false
    .vgpr_count:     46
    .vgpr_spill_count: 0
    .wavefront_size: 64
  - .agpr_count:     0
    .args:
      - .offset:         0
        .size:           4
        .value_kind:     by_value
      - .offset:         4
        .size:           4
        .value_kind:     by_value
      - .address_space:  global
        .offset:         8
        .size:           8
        .value_kind:     global_buffer
      - .address_space:  global
        .offset:         16
        .size:           8
        .value_kind:     global_buffer
      - .address_space:  global
        .offset:         24
        .size:           8
        .value_kind:     global_buffer
      - .address_space:  global
        .offset:         32
        .size:           8
        .value_kind:     global_buffer
      - .offset:         40
        .size:           4
        .value_kind:     by_value
      - .address_space:  global
        .offset:         48
        .size:           8
        .value_kind:     global_buffer
      - .address_space:  global
        .offset:         56
        .size:           8
        .value_kind:     global_buffer
      - .address_space:  global
        .offset:         64
        .size:           8
        .value_kind:     global_buffer
      - .offset:         72
        .size:           4
        .value_kind:     by_value
      - .offset:         76
        .size:           4
        .value_kind:     by_value
      - .offset:         80
        .size:           8
        .value_kind:     by_value
      - .offset:         88
        .size:           8
        .value_kind:     by_value
      - .offset:         96
        .size:           8
        .value_kind:     by_value
      - .offset:         104
        .size:           8
        .value_kind:     by_value
      - .offset:         112
        .size:           1
        .value_kind:     by_value
      - .offset:         120
        .size:           4
        .value_kind:     hidden_block_count_x
      - .offset:         124
        .size:           4
        .value_kind:     hidden_block_count_y
      - .offset:         128
        .size:           4
        .value_kind:     hidden_block_count_z
      - .offset:         132
        .size:           2
        .value_kind:     hidden_group_size_x
      - .offset:         134
        .size:           2
        .value_kind:     hidden_group_size_y
      - .offset:         136
        .size:           2
        .value_kind:     hidden_group_size_z
      - .offset:         138
        .size:           2
        .value_kind:     hidden_remainder_x
      - .offset:         140
        .size:           2
        .value_kind:     hidden_remainder_y
      - .offset:         142
        .size:           2
        .value_kind:     hidden_remainder_z
      - .offset:         160
        .size:           8
        .value_kind:     hidden_global_offset_x
      - .offset:         168
        .size:           8
        .value_kind:     hidden_global_offset_y
      - .offset:         176
        .size:           8
        .value_kind:     hidden_global_offset_z
      - .offset:         184
        .size:           2
        .value_kind:     hidden_grid_dims
    .group_segment_fixed_size: 1152
    .kernarg_segment_align: 8
    .kernarg_segment_size: 376
    .language:       OpenCL C
    .language_version:
      - 2
      - 0
    .max_flat_workgroup_size: 64
    .name:           _ZN9rocsparseL11bsrilu0_2_8ILj64ELj64ELj8E21rocsparse_complex_numIfEEEv20rocsparse_direction_iPKiS5_PT2_S5_iPiS5_S8_21rocsparse_index_base_imNS_24const_host_device_scalarIfEENSA_IdEENSA_IS6_EEb
    .private_segment_fixed_size: 0
    .sgpr_count:     65
    .sgpr_spill_count: 0
    .symbol:         _ZN9rocsparseL11bsrilu0_2_8ILj64ELj64ELj8E21rocsparse_complex_numIfEEEv20rocsparse_direction_iPKiS5_PT2_S5_iPiS5_S8_21rocsparse_index_base_imNS_24const_host_device_scalarIfEENSA_IdEENSA_IS6_EEb.kd
    .uniform_work_group_size: 1
    .uses_dynamic_stack: false
    .vgpr_count:     33
    .vgpr_spill_count: 0
    .wavefront_size: 64
  - .agpr_count:     0
    .args:
      - .offset:         0
        .size:           4
        .value_kind:     by_value
      - .offset:         4
        .size:           4
        .value_kind:     by_value
      - .address_space:  global
        .offset:         8
        .size:           8
        .value_kind:     global_buffer
      - .address_space:  global
        .offset:         16
        .size:           8
        .value_kind:     global_buffer
      - .address_space:  global
        .offset:         24
        .size:           8
        .value_kind:     global_buffer
      - .address_space:  global
        .offset:         32
        .size:           8
        .value_kind:     global_buffer
      - .offset:         40
        .size:           4
        .value_kind:     by_value
      - .address_space:  global
        .offset:         48
        .size:           8
        .value_kind:     global_buffer
      - .address_space:  global
        .offset:         56
        .size:           8
        .value_kind:     global_buffer
      - .address_space:  global
        .offset:         64
        .size:           8
        .value_kind:     global_buffer
      - .offset:         72
        .size:           4
        .value_kind:     by_value
      - .offset:         76
        .size:           4
        .value_kind:     by_value
      - .offset:         80
        .size:           8
        .value_kind:     by_value
      - .offset:         88
        .size:           8
        .value_kind:     by_value
      - .offset:         96
        .size:           8
        .value_kind:     by_value
      - .offset:         104
        .size:           8
        .value_kind:     by_value
      - .offset:         112
        .size:           1
        .value_kind:     by_value
    .group_segment_fixed_size: 4352
    .kernarg_segment_align: 8
    .kernarg_segment_size: 116
    .language:       OpenCL C
    .language_version:
      - 2
      - 0
    .max_flat_workgroup_size: 64
    .name:           _ZN9rocsparseL12bsrilu0_9_32ILj64ELj64ELj16E21rocsparse_complex_numIfEEEv20rocsparse_direction_iPKiS5_PT2_S5_iPiS5_S8_21rocsparse_index_base_imNS_24const_host_device_scalarIfEENSA_IdEENSA_IS6_EEb
    .private_segment_fixed_size: 0
    .sgpr_count:     81
    .sgpr_spill_count: 0
    .symbol:         _ZN9rocsparseL12bsrilu0_9_32ILj64ELj64ELj16E21rocsparse_complex_numIfEEEv20rocsparse_direction_iPKiS5_PT2_S5_iPiS5_S8_21rocsparse_index_base_imNS_24const_host_device_scalarIfEENSA_IdEENSA_IS6_EEb.kd
    .uniform_work_group_size: 1
    .uses_dynamic_stack: false
    .vgpr_count:     64
    .vgpr_spill_count: 0
    .wavefront_size: 64
  - .agpr_count:     0
    .args:
      - .offset:         0
        .size:           4
        .value_kind:     by_value
      - .offset:         4
        .size:           4
        .value_kind:     by_value
      - .address_space:  global
        .offset:         8
        .size:           8
        .value_kind:     global_buffer
      - .address_space:  global
        .offset:         16
        .size:           8
        .value_kind:     global_buffer
      - .address_space:  global
        .offset:         24
        .size:           8
        .value_kind:     global_buffer
      - .address_space:  global
        .offset:         32
        .size:           8
        .value_kind:     global_buffer
      - .offset:         40
        .size:           4
        .value_kind:     by_value
      - .address_space:  global
        .offset:         48
        .size:           8
        .value_kind:     global_buffer
      - .address_space:  global
        .offset:         56
        .size:           8
        .value_kind:     global_buffer
      - .address_space:  global
        .offset:         64
        .size:           8
        .value_kind:     global_buffer
      - .offset:         72
        .size:           4
        .value_kind:     by_value
      - .offset:         76
        .size:           4
        .value_kind:     by_value
      - .offset:         80
        .size:           8
        .value_kind:     by_value
      - .offset:         88
        .size:           8
        .value_kind:     by_value
      - .offset:         96
        .size:           8
        .value_kind:     by_value
      - .offset:         104
        .size:           8
        .value_kind:     by_value
      - .offset:         112
        .size:           1
        .value_kind:     by_value
    .group_segment_fixed_size: 16896
    .kernarg_segment_align: 8
    .kernarg_segment_size: 116
    .language:       OpenCL C
    .language_version:
      - 2
      - 0
    .max_flat_workgroup_size: 64
    .name:           _ZN9rocsparseL12bsrilu0_9_32ILj64ELj64ELj32E21rocsparse_complex_numIfEEEv20rocsparse_direction_iPKiS5_PT2_S5_iPiS5_S8_21rocsparse_index_base_imNS_24const_host_device_scalarIfEENSA_IdEENSA_IS6_EEb
    .private_segment_fixed_size: 0
    .sgpr_count:     81
    .sgpr_spill_count: 0
    .symbol:         _ZN9rocsparseL12bsrilu0_9_32ILj64ELj64ELj32E21rocsparse_complex_numIfEEEv20rocsparse_direction_iPKiS5_PT2_S5_iPiS5_S8_21rocsparse_index_base_imNS_24const_host_device_scalarIfEENSA_IdEENSA_IS6_EEb.kd
    .uniform_work_group_size: 1
    .uses_dynamic_stack: false
    .vgpr_count:     64
    .vgpr_spill_count: 0
    .wavefront_size: 64
  - .agpr_count:     0
    .args:
      - .offset:         0
        .size:           4
        .value_kind:     by_value
      - .offset:         4
        .size:           4
        .value_kind:     by_value
      - .address_space:  global
        .offset:         8
        .size:           8
        .value_kind:     global_buffer
      - .address_space:  global
        .offset:         16
        .size:           8
        .value_kind:     global_buffer
      - .address_space:  global
        .offset:         24
        .size:           8
        .value_kind:     global_buffer
      - .address_space:  global
        .offset:         32
        .size:           8
        .value_kind:     global_buffer
      - .offset:         40
        .size:           4
        .value_kind:     by_value
      - .address_space:  global
        .offset:         48
        .size:           8
        .value_kind:     global_buffer
      - .address_space:  global
        .offset:         56
        .size:           8
        .value_kind:     global_buffer
      - .address_space:  global
        .offset:         64
        .size:           8
        .value_kind:     global_buffer
      - .offset:         72
        .size:           4
        .value_kind:     by_value
      - .offset:         76
        .size:           4
        .value_kind:     by_value
      - .offset:         80
        .size:           8
        .value_kind:     by_value
      - .offset:         88
        .size:           8
        .value_kind:     by_value
      - .offset:         96
        .size:           8
        .value_kind:     by_value
      - .offset:         104
        .size:           8
        .value_kind:     by_value
      - .offset:         112
        .size:           1
        .value_kind:     by_value
    .group_segment_fixed_size: 33280
    .kernarg_segment_align: 8
    .kernarg_segment_size: 116
    .language:       OpenCL C
    .language_version:
      - 2
      - 0
    .max_flat_workgroup_size: 64
    .name:           _ZN9rocsparseL13bsrilu0_33_64ILj64ELj64ELj64E21rocsparse_complex_numIfEEEv20rocsparse_direction_iPKiS5_PT2_S5_iPiS5_S8_21rocsparse_index_base_imNS_24const_host_device_scalarIfEENSA_IdEENSA_IS6_EEb
    .private_segment_fixed_size: 0
    .sgpr_count:     74
    .sgpr_spill_count: 0
    .symbol:         _ZN9rocsparseL13bsrilu0_33_64ILj64ELj64ELj64E21rocsparse_complex_numIfEEEv20rocsparse_direction_iPKiS5_PT2_S5_iPiS5_S8_21rocsparse_index_base_imNS_24const_host_device_scalarIfEENSA_IdEENSA_IS6_EEb.kd
    .uniform_work_group_size: 1
    .uses_dynamic_stack: false
    .vgpr_count:     43
    .vgpr_spill_count: 0
    .wavefront_size: 64
  - .agpr_count:     0
    .args:
      - .offset:         0
        .size:           4
        .value_kind:     by_value
      - .offset:         4
        .size:           4
        .value_kind:     by_value
      - .address_space:  global
        .offset:         8
        .size:           8
        .value_kind:     global_buffer
      - .address_space:  global
        .offset:         16
        .size:           8
        .value_kind:     global_buffer
      - .address_space:  global
        .offset:         24
        .size:           8
        .value_kind:     global_buffer
      - .address_space:  global
        .offset:         32
        .size:           8
        .value_kind:     global_buffer
      - .offset:         40
        .size:           4
        .value_kind:     by_value
      - .address_space:  global
        .offset:         48
        .size:           8
        .value_kind:     global_buffer
      - .address_space:  global
        .offset:         56
        .size:           8
        .value_kind:     global_buffer
      - .address_space:  global
        .offset:         64
        .size:           8
        .value_kind:     global_buffer
      - .offset:         72
        .size:           4
        .value_kind:     by_value
      - .offset:         76
        .size:           4
        .value_kind:     by_value
      - .offset:         80
        .size:           8
        .value_kind:     by_value
      - .offset:         88
        .size:           8
        .value_kind:     by_value
      - .offset:         96
        .size:           8
        .value_kind:     by_value
      - .offset:         104
        .size:           8
        .value_kind:     by_value
      - .offset:         112
        .size:           1
        .value_kind:     by_value
    .group_segment_fixed_size: 0
    .kernarg_segment_align: 8
    .kernarg_segment_size: 116
    .language:       OpenCL C
    .language_version:
      - 2
      - 0
    .max_flat_workgroup_size: 128
    .name:           _ZN9rocsparseL15bsrilu0_generalILj128ELj64ELb0E21rocsparse_complex_numIfEEEv20rocsparse_direction_iPKiS5_PT2_S5_iPiS5_S8_21rocsparse_index_base_imNS_24const_host_device_scalarIfEENSA_IdEENSA_IS6_EEb
    .private_segment_fixed_size: 0
    .sgpr_count:     76
    .sgpr_spill_count: 0
    .symbol:         _ZN9rocsparseL15bsrilu0_generalILj128ELj64ELb0E21rocsparse_complex_numIfEEEv20rocsparse_direction_iPKiS5_PT2_S5_iPiS5_S8_21rocsparse_index_base_imNS_24const_host_device_scalarIfEENSA_IdEENSA_IS6_EEb.kd
    .uniform_work_group_size: 1
    .uses_dynamic_stack: false
    .vgpr_count:     46
    .vgpr_spill_count: 0
    .wavefront_size: 64
  - .agpr_count:     0
    .args:
      - .offset:         0
        .size:           4
        .value_kind:     by_value
      - .offset:         4
        .size:           4
        .value_kind:     by_value
      - .address_space:  global
        .offset:         8
        .size:           8
        .value_kind:     global_buffer
      - .address_space:  global
        .offset:         16
        .size:           8
        .value_kind:     global_buffer
      - .address_space:  global
        .offset:         24
        .size:           8
        .value_kind:     global_buffer
      - .address_space:  global
        .offset:         32
        .size:           8
        .value_kind:     global_buffer
      - .offset:         40
        .size:           4
        .value_kind:     by_value
      - .address_space:  global
        .offset:         48
        .size:           8
        .value_kind:     global_buffer
      - .address_space:  global
        .offset:         56
        .size:           8
        .value_kind:     global_buffer
      - .address_space:  global
        .offset:         64
        .size:           8
        .value_kind:     global_buffer
      - .offset:         72
        .size:           4
        .value_kind:     by_value
      - .offset:         76
        .size:           4
        .value_kind:     by_value
      - .offset:         80
        .size:           8
        .value_kind:     by_value
      - .offset:         88
        .size:           8
        .value_kind:     by_value
      - .offset:         96
        .size:           8
        .value_kind:     by_value
      - .offset:         104
        .size:           16
        .value_kind:     by_value
      - .offset:         120
        .size:           1
        .value_kind:     by_value
    .group_segment_fixed_size: 0
    .kernarg_segment_align: 8
    .kernarg_segment_size: 124
    .language:       OpenCL C
    .language_version:
      - 2
      - 0
    .max_flat_workgroup_size: 128
    .name:           _ZN9rocsparseL15bsrilu0_generalILj128ELj64ELb1E21rocsparse_complex_numIdEEEv20rocsparse_direction_iPKiS5_PT2_S5_iPiS5_S8_21rocsparse_index_base_imNS_24const_host_device_scalarIfEENSA_IdEENSA_IS6_EEb
    .private_segment_fixed_size: 48
    .sgpr_count:     74
    .sgpr_spill_count: 0
    .symbol:         _ZN9rocsparseL15bsrilu0_generalILj128ELj64ELb1E21rocsparse_complex_numIdEEEv20rocsparse_direction_iPKiS5_PT2_S5_iPiS5_S8_21rocsparse_index_base_imNS_24const_host_device_scalarIfEENSA_IdEENSA_IS6_EEb.kd
    .uniform_work_group_size: 1
    .uses_dynamic_stack: false
    .vgpr_count:     49
    .vgpr_spill_count: 0
    .wavefront_size: 64
  - .agpr_count:     0
    .args:
      - .offset:         0
        .size:           4
        .value_kind:     by_value
      - .offset:         4
        .size:           4
        .value_kind:     by_value
      - .address_space:  global
        .offset:         8
        .size:           8
        .value_kind:     global_buffer
      - .address_space:  global
        .offset:         16
        .size:           8
        .value_kind:     global_buffer
      - .address_space:  global
        .offset:         24
        .size:           8
        .value_kind:     global_buffer
      - .address_space:  global
        .offset:         32
        .size:           8
        .value_kind:     global_buffer
      - .offset:         40
        .size:           4
        .value_kind:     by_value
      - .address_space:  global
        .offset:         48
        .size:           8
        .value_kind:     global_buffer
      - .address_space:  global
        .offset:         56
        .size:           8
        .value_kind:     global_buffer
      - .address_space:  global
        .offset:         64
        .size:           8
        .value_kind:     global_buffer
      - .offset:         72
        .size:           4
        .value_kind:     by_value
      - .offset:         76
        .size:           4
        .value_kind:     by_value
      - .offset:         80
        .size:           8
        .value_kind:     by_value
      - .offset:         88
        .size:           8
        .value_kind:     by_value
      - .offset:         96
        .size:           8
        .value_kind:     by_value
      - .offset:         104
        .size:           16
        .value_kind:     by_value
      - .offset:         120
        .size:           1
        .value_kind:     by_value
    .group_segment_fixed_size: 0
    .kernarg_segment_align: 8
    .kernarg_segment_size: 124
    .language:       OpenCL C
    .language_version:
      - 2
      - 0
    .max_flat_workgroup_size: 128
    .name:           _ZN9rocsparseL15bsrilu0_generalILj128ELj32ELb0E21rocsparse_complex_numIdEEEv20rocsparse_direction_iPKiS5_PT2_S5_iPiS5_S8_21rocsparse_index_base_imNS_24const_host_device_scalarIfEENSA_IdEENSA_IS6_EEb
    .private_segment_fixed_size: 48
    .sgpr_count:     74
    .sgpr_spill_count: 0
    .symbol:         _ZN9rocsparseL15bsrilu0_generalILj128ELj32ELb0E21rocsparse_complex_numIdEEEv20rocsparse_direction_iPKiS5_PT2_S5_iPiS5_S8_21rocsparse_index_base_imNS_24const_host_device_scalarIfEENSA_IdEENSA_IS6_EEb.kd
    .uniform_work_group_size: 1
    .uses_dynamic_stack: false
    .vgpr_count:     49
    .vgpr_spill_count: 0
    .wavefront_size: 64
  - .agpr_count:     0
    .args:
      - .offset:         0
        .size:           4
        .value_kind:     by_value
      - .offset:         4
        .size:           4
        .value_kind:     by_value
      - .address_space:  global
        .offset:         8
        .size:           8
        .value_kind:     global_buffer
      - .address_space:  global
        .offset:         16
        .size:           8
        .value_kind:     global_buffer
      - .address_space:  global
        .offset:         24
        .size:           8
        .value_kind:     global_buffer
      - .address_space:  global
        .offset:         32
        .size:           8
        .value_kind:     global_buffer
      - .offset:         40
        .size:           4
        .value_kind:     by_value
      - .address_space:  global
        .offset:         48
        .size:           8
        .value_kind:     global_buffer
      - .address_space:  global
        .offset:         56
        .size:           8
        .value_kind:     global_buffer
      - .address_space:  global
        .offset:         64
        .size:           8
        .value_kind:     global_buffer
      - .offset:         72
        .size:           4
        .value_kind:     by_value
      - .offset:         76
        .size:           4
        .value_kind:     by_value
      - .offset:         80
        .size:           8
        .value_kind:     by_value
      - .offset:         88
        .size:           8
        .value_kind:     by_value
      - .offset:         96
        .size:           8
        .value_kind:     by_value
      - .offset:         104
        .size:           16
        .value_kind:     by_value
      - .offset:         120
        .size:           1
        .value_kind:     by_value
      - .offset:         128
        .size:           4
        .value_kind:     hidden_block_count_x
      - .offset:         132
        .size:           4
        .value_kind:     hidden_block_count_y
      - .offset:         136
        .size:           4
        .value_kind:     hidden_block_count_z
      - .offset:         140
        .size:           2
        .value_kind:     hidden_group_size_x
      - .offset:         142
        .size:           2
        .value_kind:     hidden_group_size_y
      - .offset:         144
        .size:           2
        .value_kind:     hidden_group_size_z
      - .offset:         146
        .size:           2
        .value_kind:     hidden_remainder_x
      - .offset:         148
        .size:           2
        .value_kind:     hidden_remainder_y
      - .offset:         150
        .size:           2
        .value_kind:     hidden_remainder_z
      - .offset:         168
        .size:           8
        .value_kind:     hidden_global_offset_x
      - .offset:         176
        .size:           8
        .value_kind:     hidden_global_offset_y
      - .offset:         184
        .size:           8
        .value_kind:     hidden_global_offset_z
      - .offset:         192
        .size:           2
        .value_kind:     hidden_grid_dims
    .group_segment_fixed_size: 2304
    .kernarg_segment_align: 8
    .kernarg_segment_size: 384
    .language:       OpenCL C
    .language_version:
      - 2
      - 0
    .max_flat_workgroup_size: 64
    .name:           _ZN9rocsparseL11bsrilu0_2_8ILj64ELj64ELj8E21rocsparse_complex_numIdEEEv20rocsparse_direction_iPKiS5_PT2_S5_iPiS5_S8_21rocsparse_index_base_imNS_24const_host_device_scalarIfEENSA_IdEENSA_IS6_EEb
    .private_segment_fixed_size: 48
    .sgpr_count:     63
    .sgpr_spill_count: 0
    .symbol:         _ZN9rocsparseL11bsrilu0_2_8ILj64ELj64ELj8E21rocsparse_complex_numIdEEEv20rocsparse_direction_iPKiS5_PT2_S5_iPiS5_S8_21rocsparse_index_base_imNS_24const_host_device_scalarIfEENSA_IdEENSA_IS6_EEb.kd
    .uniform_work_group_size: 1
    .uses_dynamic_stack: false
    .vgpr_count:     42
    .vgpr_spill_count: 0
    .wavefront_size: 64
  - .agpr_count:     0
    .args:
      - .offset:         0
        .size:           4
        .value_kind:     by_value
      - .offset:         4
        .size:           4
        .value_kind:     by_value
      - .address_space:  global
        .offset:         8
        .size:           8
        .value_kind:     global_buffer
      - .address_space:  global
        .offset:         16
        .size:           8
        .value_kind:     global_buffer
      - .address_space:  global
        .offset:         24
        .size:           8
        .value_kind:     global_buffer
      - .address_space:  global
        .offset:         32
        .size:           8
        .value_kind:     global_buffer
      - .offset:         40
        .size:           4
        .value_kind:     by_value
      - .address_space:  global
        .offset:         48
        .size:           8
        .value_kind:     global_buffer
      - .address_space:  global
        .offset:         56
        .size:           8
        .value_kind:     global_buffer
      - .address_space:  global
        .offset:         64
        .size:           8
        .value_kind:     global_buffer
      - .offset:         72
        .size:           4
        .value_kind:     by_value
      - .offset:         76
        .size:           4
        .value_kind:     by_value
      - .offset:         80
        .size:           8
        .value_kind:     by_value
      - .offset:         88
        .size:           8
        .value_kind:     by_value
      - .offset:         96
        .size:           8
        .value_kind:     by_value
      - .offset:         104
        .size:           16
        .value_kind:     by_value
      - .offset:         120
        .size:           1
        .value_kind:     by_value
    .group_segment_fixed_size: 8704
    .kernarg_segment_align: 8
    .kernarg_segment_size: 124
    .language:       OpenCL C
    .language_version:
      - 2
      - 0
    .max_flat_workgroup_size: 64
    .name:           _ZN9rocsparseL12bsrilu0_9_32ILj64ELj64ELj16E21rocsparse_complex_numIdEEEv20rocsparse_direction_iPKiS5_PT2_S5_iPiS5_S8_21rocsparse_index_base_imNS_24const_host_device_scalarIfEENSA_IdEENSA_IS6_EEb
    .private_segment_fixed_size: 48
    .sgpr_count:     67
    .sgpr_spill_count: 0
    .symbol:         _ZN9rocsparseL12bsrilu0_9_32ILj64ELj64ELj16E21rocsparse_complex_numIdEEEv20rocsparse_direction_iPKiS5_PT2_S5_iPiS5_S8_21rocsparse_index_base_imNS_24const_host_device_scalarIfEENSA_IdEENSA_IS6_EEb.kd
    .uniform_work_group_size: 1
    .uses_dynamic_stack: false
    .vgpr_count:     46
    .vgpr_spill_count: 0
    .wavefront_size: 64
  - .agpr_count:     0
    .args:
      - .offset:         0
        .size:           4
        .value_kind:     by_value
      - .offset:         4
        .size:           4
        .value_kind:     by_value
      - .address_space:  global
        .offset:         8
        .size:           8
        .value_kind:     global_buffer
      - .address_space:  global
        .offset:         16
        .size:           8
        .value_kind:     global_buffer
      - .address_space:  global
        .offset:         24
        .size:           8
        .value_kind:     global_buffer
      - .address_space:  global
        .offset:         32
        .size:           8
        .value_kind:     global_buffer
      - .offset:         40
        .size:           4
        .value_kind:     by_value
      - .address_space:  global
        .offset:         48
        .size:           8
        .value_kind:     global_buffer
      - .address_space:  global
        .offset:         56
        .size:           8
        .value_kind:     global_buffer
      - .address_space:  global
        .offset:         64
        .size:           8
        .value_kind:     global_buffer
      - .offset:         72
        .size:           4
        .value_kind:     by_value
      - .offset:         76
        .size:           4
        .value_kind:     by_value
      - .offset:         80
        .size:           8
        .value_kind:     by_value
      - .offset:         88
        .size:           8
        .value_kind:     by_value
      - .offset:         96
        .size:           8
        .value_kind:     by_value
      - .offset:         104
        .size:           16
        .value_kind:     by_value
      - .offset:         120
        .size:           1
        .value_kind:     by_value
    .group_segment_fixed_size: 33792
    .kernarg_segment_align: 8
    .kernarg_segment_size: 124
    .language:       OpenCL C
    .language_version:
      - 2
      - 0
    .max_flat_workgroup_size: 64
    .name:           _ZN9rocsparseL12bsrilu0_9_32ILj64ELj64ELj32E21rocsparse_complex_numIdEEEv20rocsparse_direction_iPKiS5_PT2_S5_iPiS5_S8_21rocsparse_index_base_imNS_24const_host_device_scalarIfEENSA_IdEENSA_IS6_EEb
    .private_segment_fixed_size: 48
    .sgpr_count:     67
    .sgpr_spill_count: 0
    .symbol:         _ZN9rocsparseL12bsrilu0_9_32ILj64ELj64ELj32E21rocsparse_complex_numIdEEEv20rocsparse_direction_iPKiS5_PT2_S5_iPiS5_S8_21rocsparse_index_base_imNS_24const_host_device_scalarIfEENSA_IdEENSA_IS6_EEb.kd
    .uniform_work_group_size: 1
    .uses_dynamic_stack: false
    .vgpr_count:     46
    .vgpr_spill_count: 0
    .wavefront_size: 64
  - .agpr_count:     0
    .args:
      - .offset:         0
        .size:           4
        .value_kind:     by_value
      - .offset:         4
        .size:           4
        .value_kind:     by_value
      - .address_space:  global
        .offset:         8
        .size:           8
        .value_kind:     global_buffer
      - .address_space:  global
        .offset:         16
        .size:           8
        .value_kind:     global_buffer
      - .address_space:  global
        .offset:         24
        .size:           8
        .value_kind:     global_buffer
      - .address_space:  global
        .offset:         32
        .size:           8
        .value_kind:     global_buffer
      - .offset:         40
        .size:           4
        .value_kind:     by_value
      - .address_space:  global
        .offset:         48
        .size:           8
        .value_kind:     global_buffer
      - .address_space:  global
        .offset:         56
        .size:           8
        .value_kind:     global_buffer
      - .address_space:  global
        .offset:         64
        .size:           8
        .value_kind:     global_buffer
      - .offset:         72
        .size:           4
        .value_kind:     by_value
      - .offset:         76
        .size:           4
        .value_kind:     by_value
      - .offset:         80
        .size:           8
        .value_kind:     by_value
      - .offset:         88
        .size:           8
        .value_kind:     by_value
      - .offset:         96
        .size:           8
        .value_kind:     by_value
      - .offset:         104
        .size:           16
        .value_kind:     by_value
      - .offset:         120
        .size:           1
        .value_kind:     by_value
    .group_segment_fixed_size: 0
    .kernarg_segment_align: 8
    .kernarg_segment_size: 124
    .language:       OpenCL C
    .language_version:
      - 2
      - 0
    .max_flat_workgroup_size: 128
    .name:           _ZN9rocsparseL15bsrilu0_generalILj128ELj64ELb0E21rocsparse_complex_numIdEEEv20rocsparse_direction_iPKiS5_PT2_S5_iPiS5_S8_21rocsparse_index_base_imNS_24const_host_device_scalarIfEENSA_IdEENSA_IS6_EEb
    .private_segment_fixed_size: 48
    .sgpr_count:     74
    .sgpr_spill_count: 0
    .symbol:         _ZN9rocsparseL15bsrilu0_generalILj128ELj64ELb0E21rocsparse_complex_numIdEEEv20rocsparse_direction_iPKiS5_PT2_S5_iPiS5_S8_21rocsparse_index_base_imNS_24const_host_device_scalarIfEENSA_IdEENSA_IS6_EEb.kd
    .uniform_work_group_size: 1
    .uses_dynamic_stack: false
    .vgpr_count:     49
    .vgpr_spill_count: 0
    .wavefront_size: 64
amdhsa.target:   amdgcn-amd-amdhsa--gfx950
amdhsa.version:
  - 1
  - 2
...

	.end_amdgpu_metadata
